;; amdgpu-corpus repo=ROCm/rocFFT kind=compiled arch=gfx906 opt=O3
	.text
	.amdgcn_target "amdgcn-amd-amdhsa--gfx906"
	.amdhsa_code_object_version 6
	.protected	fft_rtc_back_len3600_factors_10_10_6_6_wgs_120_tpt_120_halfLds_dp_ip_CI_unitstride_sbrr_R2C_dirReg ; -- Begin function fft_rtc_back_len3600_factors_10_10_6_6_wgs_120_tpt_120_halfLds_dp_ip_CI_unitstride_sbrr_R2C_dirReg
	.globl	fft_rtc_back_len3600_factors_10_10_6_6_wgs_120_tpt_120_halfLds_dp_ip_CI_unitstride_sbrr_R2C_dirReg
	.p2align	8
	.type	fft_rtc_back_len3600_factors_10_10_6_6_wgs_120_tpt_120_halfLds_dp_ip_CI_unitstride_sbrr_R2C_dirReg,@function
fft_rtc_back_len3600_factors_10_10_6_6_wgs_120_tpt_120_halfLds_dp_ip_CI_unitstride_sbrr_R2C_dirReg: ; @fft_rtc_back_len3600_factors_10_10_6_6_wgs_120_tpt_120_halfLds_dp_ip_CI_unitstride_sbrr_R2C_dirReg
; %bb.0:
	s_load_dwordx2 s[2:3], s[4:5], 0x50
	s_load_dwordx4 s[8:11], s[4:5], 0x0
	s_load_dwordx2 s[12:13], s[4:5], 0x18
	v_mul_u32_u24_e32 v1, 0x223, v0
	v_add_u32_sdwa v5, s6, v1 dst_sel:DWORD dst_unused:UNUSED_PAD src0_sel:DWORD src1_sel:WORD_1
	v_mov_b32_e32 v3, 0
	s_waitcnt lgkmcnt(0)
	v_cmp_lt_u64_e64 s[0:1], s[10:11], 2
	v_mov_b32_e32 v1, 0
	v_mov_b32_e32 v6, v3
	s_and_b64 vcc, exec, s[0:1]
	v_mov_b32_e32 v2, 0
	s_cbranch_vccnz .LBB0_8
; %bb.1:
	s_load_dwordx2 s[0:1], s[4:5], 0x10
	s_add_u32 s6, s12, 8
	s_addc_u32 s7, s13, 0
	v_mov_b32_e32 v1, 0
	v_mov_b32_e32 v2, 0
	s_waitcnt lgkmcnt(0)
	s_add_u32 s14, s0, 8
	s_addc_u32 s15, s1, 0
	s_mov_b64 s[16:17], 1
.LBB0_2:                                ; =>This Inner Loop Header: Depth=1
	s_load_dwordx2 s[18:19], s[14:15], 0x0
                                        ; implicit-def: $vgpr7_vgpr8
	s_waitcnt lgkmcnt(0)
	v_or_b32_e32 v4, s19, v6
	v_cmp_ne_u64_e32 vcc, 0, v[3:4]
	s_and_saveexec_b64 s[0:1], vcc
	s_xor_b64 s[20:21], exec, s[0:1]
	s_cbranch_execz .LBB0_4
; %bb.3:                                ;   in Loop: Header=BB0_2 Depth=1
	v_cvt_f32_u32_e32 v4, s18
	v_cvt_f32_u32_e32 v7, s19
	s_sub_u32 s0, 0, s18
	s_subb_u32 s1, 0, s19
	v_mac_f32_e32 v4, 0x4f800000, v7
	v_rcp_f32_e32 v4, v4
	v_mul_f32_e32 v4, 0x5f7ffffc, v4
	v_mul_f32_e32 v7, 0x2f800000, v4
	v_trunc_f32_e32 v7, v7
	v_mac_f32_e32 v4, 0xcf800000, v7
	v_cvt_u32_f32_e32 v7, v7
	v_cvt_u32_f32_e32 v4, v4
	v_mul_lo_u32 v8, s0, v7
	v_mul_hi_u32 v9, s0, v4
	v_mul_lo_u32 v11, s1, v4
	v_mul_lo_u32 v10, s0, v4
	v_add_u32_e32 v8, v9, v8
	v_add_u32_e32 v8, v8, v11
	v_mul_hi_u32 v9, v4, v10
	v_mul_lo_u32 v11, v4, v8
	v_mul_hi_u32 v13, v4, v8
	v_mul_hi_u32 v12, v7, v10
	v_mul_lo_u32 v10, v7, v10
	v_mul_hi_u32 v14, v7, v8
	v_add_co_u32_e32 v9, vcc, v9, v11
	v_addc_co_u32_e32 v11, vcc, 0, v13, vcc
	v_mul_lo_u32 v8, v7, v8
	v_add_co_u32_e32 v9, vcc, v9, v10
	v_addc_co_u32_e32 v9, vcc, v11, v12, vcc
	v_addc_co_u32_e32 v10, vcc, 0, v14, vcc
	v_add_co_u32_e32 v8, vcc, v9, v8
	v_addc_co_u32_e32 v9, vcc, 0, v10, vcc
	v_add_co_u32_e32 v4, vcc, v4, v8
	v_addc_co_u32_e32 v7, vcc, v7, v9, vcc
	v_mul_lo_u32 v8, s0, v7
	v_mul_hi_u32 v9, s0, v4
	v_mul_lo_u32 v10, s1, v4
	v_mul_lo_u32 v11, s0, v4
	v_add_u32_e32 v8, v9, v8
	v_add_u32_e32 v8, v8, v10
	v_mul_lo_u32 v12, v4, v8
	v_mul_hi_u32 v13, v4, v11
	v_mul_hi_u32 v14, v4, v8
	;; [unrolled: 1-line block ×3, first 2 shown]
	v_mul_lo_u32 v11, v7, v11
	v_mul_hi_u32 v9, v7, v8
	v_add_co_u32_e32 v12, vcc, v13, v12
	v_addc_co_u32_e32 v13, vcc, 0, v14, vcc
	v_mul_lo_u32 v8, v7, v8
	v_add_co_u32_e32 v11, vcc, v12, v11
	v_addc_co_u32_e32 v10, vcc, v13, v10, vcc
	v_addc_co_u32_e32 v9, vcc, 0, v9, vcc
	v_add_co_u32_e32 v8, vcc, v10, v8
	v_addc_co_u32_e32 v9, vcc, 0, v9, vcc
	v_add_co_u32_e32 v4, vcc, v4, v8
	v_addc_co_u32_e32 v9, vcc, v7, v9, vcc
	v_mad_u64_u32 v[7:8], s[0:1], v5, v9, 0
	v_mul_hi_u32 v10, v5, v4
	v_add_co_u32_e32 v11, vcc, v10, v7
	v_addc_co_u32_e32 v12, vcc, 0, v8, vcc
	v_mad_u64_u32 v[7:8], s[0:1], v6, v4, 0
	v_mad_u64_u32 v[9:10], s[0:1], v6, v9, 0
	v_add_co_u32_e32 v4, vcc, v11, v7
	v_addc_co_u32_e32 v4, vcc, v12, v8, vcc
	v_addc_co_u32_e32 v7, vcc, 0, v10, vcc
	v_add_co_u32_e32 v4, vcc, v4, v9
	v_addc_co_u32_e32 v9, vcc, 0, v7, vcc
	v_mul_lo_u32 v10, s19, v4
	v_mul_lo_u32 v11, s18, v9
	v_mad_u64_u32 v[7:8], s[0:1], s18, v4, 0
	v_add3_u32 v8, v8, v11, v10
	v_sub_u32_e32 v10, v6, v8
	v_mov_b32_e32 v11, s19
	v_sub_co_u32_e32 v7, vcc, v5, v7
	v_subb_co_u32_e64 v10, s[0:1], v10, v11, vcc
	v_subrev_co_u32_e64 v11, s[0:1], s18, v7
	v_subbrev_co_u32_e64 v10, s[0:1], 0, v10, s[0:1]
	v_cmp_le_u32_e64 s[0:1], s19, v10
	v_cndmask_b32_e64 v12, 0, -1, s[0:1]
	v_cmp_le_u32_e64 s[0:1], s18, v11
	v_cndmask_b32_e64 v11, 0, -1, s[0:1]
	v_cmp_eq_u32_e64 s[0:1], s19, v10
	v_cndmask_b32_e64 v10, v12, v11, s[0:1]
	v_add_co_u32_e64 v11, s[0:1], 2, v4
	v_addc_co_u32_e64 v12, s[0:1], 0, v9, s[0:1]
	v_add_co_u32_e64 v13, s[0:1], 1, v4
	v_addc_co_u32_e64 v14, s[0:1], 0, v9, s[0:1]
	v_subb_co_u32_e32 v8, vcc, v6, v8, vcc
	v_cmp_ne_u32_e64 s[0:1], 0, v10
	v_cmp_le_u32_e32 vcc, s19, v8
	v_cndmask_b32_e64 v10, v14, v12, s[0:1]
	v_cndmask_b32_e64 v12, 0, -1, vcc
	v_cmp_le_u32_e32 vcc, s18, v7
	v_cndmask_b32_e64 v7, 0, -1, vcc
	v_cmp_eq_u32_e32 vcc, s19, v8
	v_cndmask_b32_e32 v7, v12, v7, vcc
	v_cmp_ne_u32_e32 vcc, 0, v7
	v_cndmask_b32_e64 v7, v13, v11, s[0:1]
	v_cndmask_b32_e32 v8, v9, v10, vcc
	v_cndmask_b32_e32 v7, v4, v7, vcc
.LBB0_4:                                ;   in Loop: Header=BB0_2 Depth=1
	s_andn2_saveexec_b64 s[0:1], s[20:21]
	s_cbranch_execz .LBB0_6
; %bb.5:                                ;   in Loop: Header=BB0_2 Depth=1
	v_cvt_f32_u32_e32 v4, s18
	s_sub_i32 s20, 0, s18
	v_rcp_iflag_f32_e32 v4, v4
	v_mul_f32_e32 v4, 0x4f7ffffe, v4
	v_cvt_u32_f32_e32 v4, v4
	v_mul_lo_u32 v7, s20, v4
	v_mul_hi_u32 v7, v4, v7
	v_add_u32_e32 v4, v4, v7
	v_mul_hi_u32 v4, v5, v4
	v_mul_lo_u32 v7, v4, s18
	v_add_u32_e32 v8, 1, v4
	v_sub_u32_e32 v7, v5, v7
	v_subrev_u32_e32 v9, s18, v7
	v_cmp_le_u32_e32 vcc, s18, v7
	v_cndmask_b32_e32 v7, v7, v9, vcc
	v_cndmask_b32_e32 v4, v4, v8, vcc
	v_add_u32_e32 v8, 1, v4
	v_cmp_le_u32_e32 vcc, s18, v7
	v_cndmask_b32_e32 v7, v4, v8, vcc
	v_mov_b32_e32 v8, v3
.LBB0_6:                                ;   in Loop: Header=BB0_2 Depth=1
	s_or_b64 exec, exec, s[0:1]
	v_mul_lo_u32 v4, v8, s18
	v_mul_lo_u32 v11, v7, s19
	v_mad_u64_u32 v[9:10], s[0:1], v7, s18, 0
	s_load_dwordx2 s[0:1], s[6:7], 0x0
	s_add_u32 s16, s16, 1
	v_add3_u32 v4, v10, v11, v4
	v_sub_co_u32_e32 v5, vcc, v5, v9
	v_subb_co_u32_e32 v4, vcc, v6, v4, vcc
	s_waitcnt lgkmcnt(0)
	v_mul_lo_u32 v4, s0, v4
	v_mul_lo_u32 v6, s1, v5
	v_mad_u64_u32 v[1:2], s[0:1], s0, v5, v[1:2]
	s_addc_u32 s17, s17, 0
	s_add_u32 s6, s6, 8
	v_add3_u32 v2, v6, v2, v4
	v_mov_b32_e32 v4, s10
	v_mov_b32_e32 v5, s11
	s_addc_u32 s7, s7, 0
	v_cmp_ge_u64_e32 vcc, s[16:17], v[4:5]
	s_add_u32 s14, s14, 8
	s_addc_u32 s15, s15, 0
	s_cbranch_vccnz .LBB0_9
; %bb.7:                                ;   in Loop: Header=BB0_2 Depth=1
	v_mov_b32_e32 v5, v7
	v_mov_b32_e32 v6, v8
	s_branch .LBB0_2
.LBB0_8:
	v_mov_b32_e32 v8, v6
	v_mov_b32_e32 v7, v5
.LBB0_9:
	s_lshl_b64 s[0:1], s[10:11], 3
	s_add_u32 s0, s12, s0
	s_addc_u32 s1, s13, s1
	s_load_dwordx2 s[6:7], s[0:1], 0x0
	s_load_dwordx2 s[10:11], s[4:5], 0x20
                                        ; implicit-def: $vgpr92
                                        ; implicit-def: $vgpr96
                                        ; implicit-def: $vgpr95
                                        ; implicit-def: $vgpr94
	s_waitcnt lgkmcnt(0)
	v_mad_u64_u32 v[1:2], s[0:1], s6, v7, v[1:2]
	s_mov_b32 s0, 0x2222223
	v_mul_lo_u32 v3, s6, v8
	v_mul_lo_u32 v4, s7, v7
	v_mul_hi_u32 v5, v0, s0
	v_cmp_gt_u64_e64 s[0:1], s[10:11], v[7:8]
	v_cmp_le_u64_e32 vcc, s[10:11], v[7:8]
	v_add3_u32 v2, v4, v2, v3
	v_mul_u32_u24_e32 v3, 0x78, v5
	v_sub_u32_e32 v88, v0, v3
	s_and_saveexec_b64 s[4:5], vcc
	s_xor_b64 s[4:5], exec, s[4:5]
; %bb.10:
	v_add_u32_e32 v92, 0x78, v88
	v_add_u32_e32 v96, 0xf0, v88
	;; [unrolled: 1-line block ×4, first 2 shown]
; %bb.11:
	s_or_saveexec_b64 s[4:5], s[4:5]
	v_lshlrev_b64 v[90:91], 4, v[1:2]
	s_xor_b64 exec, exec, s[4:5]
	s_cbranch_execz .LBB0_13
; %bb.12:
	v_mov_b32_e32 v89, 0
	v_mov_b32_e32 v0, s3
	v_add_co_u32_e32 v50, vcc, s2, v90
	v_addc_co_u32_e32 v51, vcc, v0, v91, vcc
	v_lshlrev_b64 v[0:1], 4, v[88:89]
	s_movk_i32 s6, 0x1000
	v_add_co_u32_e32 v116, vcc, v50, v0
	v_addc_co_u32_e32 v117, vcc, v51, v1, vcc
	v_add_co_u32_e32 v24, vcc, s6, v116
	v_addc_co_u32_e32 v25, vcc, 0, v117, vcc
	s_movk_i32 s6, 0x2000
	v_add_co_u32_e32 v32, vcc, s6, v116
	v_addc_co_u32_e32 v33, vcc, 0, v117, vcc
	s_movk_i32 s6, 0x3000
	;; [unrolled: 3-line block ×5, first 2 shown]
	v_add_co_u32_e32 v74, vcc, s6, v116
	global_load_dwordx4 v[0:3], v[116:117], off
	global_load_dwordx4 v[4:7], v[116:117], off offset:1920
	global_load_dwordx4 v[8:11], v[116:117], off offset:3840
	;; [unrolled: 1-line block ×5, first 2 shown]
	s_nop 0
	global_load_dwordx4 v[24:27], v[32:33], off offset:3328
	global_load_dwordx4 v[28:31], v[40:41], off offset:1152
	s_nop 0
	global_load_dwordx4 v[32:35], v[40:41], off offset:3072
	global_load_dwordx4 v[36:39], v[48:49], off offset:896
	s_nop 0
	global_load_dwordx4 v[40:43], v[48:49], off offset:2816
	global_load_dwordx4 v[44:47], v[72:73], off offset:640
	s_movk_i32 s7, 0x7000
	v_or_b32_e32 v48, 0x780, v88
	v_mov_b32_e32 v49, v89
	v_addc_co_u32_e32 v75, vcc, 0, v117, vcc
	v_lshlrev_b64 v[48:49], 4, v[48:49]
	v_add_co_u32_e32 v76, vcc, s7, v116
	v_addc_co_u32_e32 v77, vcc, 0, v117, vcc
	v_add_co_u32_e32 v78, vcc, v50, v48
	v_addc_co_u32_e32 v79, vcc, v51, v49, vcc
	s_mov_b32 s6, 0x8000
	v_add_co_u32_e32 v80, vcc, s6, v116
	v_addc_co_u32_e32 v81, vcc, 0, v117, vcc
	s_mov_b32 s6, 0x9000
	;; [unrolled: 3-line block ×4, first 2 shown]
	v_add_co_u32_e32 v108, vcc, s6, v116
	v_addc_co_u32_e32 v109, vcc, 0, v117, vcc
	v_add_co_u32_e32 v118, vcc, 0xc000, v116
	v_addc_co_u32_e32 v119, vcc, 0, v117, vcc
	v_add_co_u32_e32 v124, vcc, 0xd000, v116
	global_load_dwordx4 v[48:51], v[72:73], off offset:2560
	global_load_dwordx4 v[52:55], v[74:75], off offset:384
	;; [unrolled: 1-line block ×4, first 2 shown]
	global_load_dwordx4 v[64:67], v[78:79], off
	global_load_dwordx4 v[68:71], v[76:77], off offset:3968
	s_nop 0
	global_load_dwordx4 v[72:75], v[80:81], off offset:1792
	global_load_dwordx4 v[76:79], v[80:81], off offset:3712
	s_nop 0
	global_load_dwordx4 v[80:83], v[92:93], off offset:1536
	;; [unrolled: 3-line block ×3, first 2 shown]
	global_load_dwordx4 v[96:99], v[100:101], off offset:3200
	v_addc_co_u32_e32 v125, vcc, 0, v117, vcc
	global_load_dwordx4 v[100:103], v[108:109], off offset:1024
	global_load_dwordx4 v[104:107], v[108:109], off offset:2944
	s_nop 0
	global_load_dwordx4 v[108:111], v[118:119], off offset:768
	global_load_dwordx4 v[112:115], v[118:119], off offset:2688
	s_nop 0
	global_load_dwordx4 v[116:119], v[124:125], off offset:512
	global_load_dwordx4 v[120:123], v[124:125], off offset:2432
	v_lshl_add_u32 v89, v88, 4, 0
	s_waitcnt vmcnt(29)
	ds_write_b128 v89, v[0:3]
	s_waitcnt vmcnt(28)
	ds_write_b128 v89, v[4:7] offset:1920
	s_waitcnt vmcnt(27)
	ds_write_b128 v89, v[8:11] offset:3840
	;; [unrolled: 2-line block ×24, first 2 shown]
	v_add_u32_e32 v92, 0x78, v88
	v_add_u32_e32 v96, 0xf0, v88
	;; [unrolled: 1-line block ×4, first 2 shown]
	s_waitcnt vmcnt(4)
	ds_write_b128 v89, v[104:107] offset:48000
	s_waitcnt vmcnt(3)
	ds_write_b128 v89, v[108:111] offset:49920
	;; [unrolled: 2-line block ×5, first 2 shown]
.LBB0_13:
	s_or_b64 exec, exec, s[4:5]
	v_lshlrev_b32_e32 v89, 4, v88
	v_add_u32_e32 v98, 0, v89
	s_waitcnt lgkmcnt(0)
	s_barrier
	ds_read_b128 v[4:7], v98 offset:11520
	ds_read_b128 v[40:43], v98
	ds_read_b128 v[0:3], v98 offset:1920
	ds_read_b128 v[12:15], v98 offset:13440
	;; [unrolled: 1-line block ×7, first 2 shown]
	s_waitcnt lgkmcnt(7)
	v_add_f64 v[8:9], v[40:41], v[4:5]
	v_add_f64 v[10:11], v[42:43], v[6:7]
	ds_read_b128 v[44:47], v98 offset:17280
	s_waitcnt lgkmcnt(4)
	v_add_f64 v[60:61], v[20:21], v[24:25]
	ds_read_b128 v[28:31], v98 offset:46080
	v_add_f64 v[70:71], v[20:21], -v[24:25]
	v_add_f64 v[62:63], v[22:23], -v[26:27]
	;; [unrolled: 1-line block ×3, first 2 shown]
	v_add_f64 v[36:37], v[8:9], v[20:21]
	v_add_f64 v[38:39], v[10:11], v[22:23]
	ds_read_b128 v[8:11], v98 offset:36480
	s_waitcnt lgkmcnt(1)
	v_add_f64 v[84:85], v[28:29], -v[24:25]
	v_add_f64 v[107:108], v[24:25], -v[28:29]
	;; [unrolled: 1-line block ×3, first 2 shown]
	v_add_f64 v[68:69], v[22:23], v[26:27]
	v_add_f64 v[72:73], v[6:7], -v[22:23]
	v_add_f64 v[56:57], v[36:37], v[24:25]
	v_add_f64 v[24:25], v[48:49], v[44:45]
	v_add_f64 v[74:75], v[22:23], -v[6:7]
	v_add_f64 v[80:81], v[6:7], -v[30:31]
	v_add_f64 v[76:77], v[4:5], v[28:29]
	v_add_f64 v[82:83], v[4:5], -v[28:29]
	v_add_f64 v[78:79], v[6:7], v[30:31]
	v_add_f64 v[58:59], v[38:39], v[26:27]
	ds_read_b128 v[4:7], v98 offset:3840
	ds_read_b128 v[20:23], v98 offset:15360
	;; [unrolled: 1-line block ×4, first 2 shown]
	v_add_f64 v[86:87], v[50:51], v[46:47]
	v_add_f64 v[99:100], v[30:31], -v[26:27]
	v_add_f64 v[109:110], v[26:27], -v[30:31]
	s_waitcnt lgkmcnt(1)
	v_add_f64 v[101:102], v[24:25], v[36:37]
	s_waitcnt lgkmcnt(0)
	v_add_f64 v[119:120], v[38:39], v[54:55]
	v_add_f64 v[103:104], v[56:57], v[28:29]
	;; [unrolled: 1-line block ×3, first 2 shown]
	ds_read_b128 v[28:31], v98 offset:26880
	ds_read_b128 v[56:59], v98 offset:51840
	v_add_f64 v[86:87], v[86:87], v[38:39]
	v_add_f64 v[111:112], v[36:37], v[52:53]
	v_add_f64 v[115:116], v[44:45], -v[36:37]
	v_add_f64 v[117:118], v[36:37], -v[44:45]
	s_waitcnt lgkmcnt(0)
	v_add_f64 v[129:130], v[44:45], v[56:57]
	v_add_f64 v[44:45], v[44:45], -v[56:57]
	v_add_f64 v[101:102], v[101:102], v[52:53]
	v_fma_f64 v[119:120], v[119:120], -0.5, v[50:51]
	s_mov_b32 s10, 0x134454ff
	s_mov_b32 s11, 0xbfee6f0e
	s_mov_b32 s5, 0x3fee6f0e
	s_mov_b32 s4, s10
	v_add_f64 v[121:122], v[36:37], -v[52:53]
	v_add_f64 v[123:124], v[46:47], -v[38:39]
	;; [unrolled: 1-line block ×3, first 2 shown]
	v_add_f64 v[86:87], v[86:87], v[54:55]
	v_add_f64 v[131:132], v[56:57], -v[52:53]
	v_add_f64 v[52:53], v[52:53], -v[56:57]
	;; [unrolled: 1-line block ×3, first 2 shown]
	v_fma_f64 v[111:112], v[111:112], -0.5, v[48:49]
	v_add_f64 v[56:57], v[101:102], v[56:57]
	v_fma_f64 v[101:102], v[44:45], s[4:5], v[119:120]
	s_mov_b32 s12, 0x4755a5e
	s_mov_b32 s13, 0xbfe2cf23
	;; [unrolled: 1-line block ×4, first 2 shown]
	v_add_f64 v[113:114], v[38:39], -v[54:55]
	v_add_f64 v[125:126], v[38:39], -v[46:47]
	v_add_f64 v[46:47], v[46:47], v[58:59]
	v_add_f64 v[54:55], v[54:55], -v[58:59]
	v_add_f64 v[58:59], v[86:87], v[58:59]
	v_fma_f64 v[86:87], v[127:128], s[10:11], v[111:112]
	v_add_f64 v[123:124], v[123:124], v[133:134]
	v_fma_f64 v[101:102], v[121:122], s[6:7], v[101:102]
	v_fma_f64 v[60:61], v[60:61], -0.5, v[40:41]
	s_mov_b32 s14, 0x372fe950
	s_mov_b32 s15, 0x3fd3c6ef
	v_add_f64 v[115:116], v[115:116], v[131:132]
	v_fma_f64 v[40:41], v[76:77], -0.5, v[40:41]
	v_fma_f64 v[86:87], v[113:114], s[12:13], v[86:87]
	v_fma_f64 v[68:69], v[68:69], -0.5, v[42:43]
	v_fma_f64 v[76:77], v[123:124], s[14:15], v[101:102]
	v_fma_f64 v[46:47], v[46:47], -0.5, v[50:51]
	v_add_f64 v[50:51], v[64:65], v[84:85]
	v_fma_f64 v[64:65], v[80:81], s[10:11], v[60:61]
	v_fma_f64 v[42:43], v[78:79], -0.5, v[42:43]
	v_fma_f64 v[48:49], v[129:130], -0.5, v[48:49]
	v_fma_f64 v[78:79], v[115:116], s[14:15], v[86:87]
	v_fma_f64 v[84:85], v[82:83], s[4:5], v[68:69]
	v_mul_f64 v[86:87], v[76:77], s[12:13]
	s_mov_b32 s20, 0x9b97f4a8
	s_mov_b32 s21, 0x3fe9e377
	v_fma_f64 v[64:65], v[62:63], s[12:13], v[64:65]
	v_add_f64 v[72:73], v[72:73], v[99:100]
	v_fma_f64 v[129:130], v[121:122], s[10:11], v[46:47]
	v_mul_f64 v[101:102], v[78:79], s[6:7]
	v_fma_f64 v[84:85], v[70:71], s[6:7], v[84:85]
	v_fma_f64 v[86:87], v[78:79], s[20:21], v[86:87]
	v_fma_f64 v[78:79], v[113:114], s[4:5], v[48:49]
	v_fma_f64 v[46:47], v[121:122], s[4:5], v[46:47]
	v_fma_f64 v[64:65], v[50:51], s[14:15], v[64:65]
	v_fma_f64 v[48:49], v[113:114], s[10:11], v[48:49]
	v_add_f64 v[99:100], v[103:104], v[56:57]
	v_fma_f64 v[131:132], v[76:77], s[20:21], v[101:102]
	v_add_f64 v[54:55], v[125:126], v[54:55]
	v_fma_f64 v[125:126], v[44:45], s[6:7], v[129:130]
	v_fma_f64 v[129:130], v[72:73], s[14:15], v[84:85]
	v_add_f64 v[76:77], v[103:104], -v[56:57]
	v_add_f64 v[52:53], v[117:118], v[52:53]
	v_fma_f64 v[56:57], v[127:128], s[12:13], v[78:79]
	v_add_f64 v[103:104], v[64:65], v[86:87]
	v_add_f64 v[84:85], v[64:65], -v[86:87]
	v_fma_f64 v[64:65], v[62:63], s[4:5], v[40:41]
	v_fma_f64 v[46:47], v[44:45], s[12:13], v[46:47]
	v_fma_f64 v[48:49], v[127:128], s[6:7], v[48:49]
	v_fma_f64 v[44:45], v[44:45], s[10:11], v[119:120]
	v_add_f64 v[66:67], v[66:67], v[107:108]
	v_fma_f64 v[56:57], v[52:53], s[14:15], v[56:57]
	v_add_f64 v[101:102], v[105:106], v[58:59]
	v_add_f64 v[78:79], v[105:106], -v[58:59]
	v_fma_f64 v[64:65], v[80:81], s[12:13], v[64:65]
	v_fma_f64 v[58:59], v[54:55], s[14:15], v[125:126]
	;; [unrolled: 1-line block ×14, first 2 shown]
	v_mul_f64 v[125:126], v[58:59], s[10:11]
	v_mul_f64 v[58:59], v[58:59], s[14:15]
	v_add_f64 v[74:75], v[74:75], v[109:110]
	v_fma_f64 v[107:108], v[82:83], s[6:7], v[117:118]
	s_mov_b32 s17, 0xbfd3c6ef
	s_mov_b32 s16, s14
	v_fma_f64 v[40:41], v[80:81], s[6:7], v[40:41]
	v_fma_f64 v[42:43], v[82:83], s[12:13], v[42:43]
	v_mul_f64 v[68:69], v[46:47], s[10:11]
	v_mul_f64 v[46:47], v[46:47], s[16:17]
	s_mov_b32 s19, 0xbfe9e377
	s_mov_b32 s18, s20
	v_fma_f64 v[60:61], v[62:63], s[6:7], v[60:61]
	v_fma_f64 v[62:63], v[70:71], s[12:13], v[64:65]
	;; [unrolled: 1-line block ×3, first 2 shown]
	v_mul_f64 v[64:65], v[44:45], s[12:13]
	v_mul_f64 v[44:45], v[44:45], s[18:19]
	v_fma_f64 v[117:118], v[56:57], s[14:15], v[125:126]
	v_fma_f64 v[56:57], v[56:57], s[4:5], v[58:59]
	;; [unrolled: 1-line block ×11, first 2 shown]
	v_add_f64 v[105:106], v[129:130], v[131:132]
	v_add_f64 v[107:108], v[54:55], v[117:118]
	;; [unrolled: 1-line block ×3, first 2 shown]
	v_add_f64 v[111:112], v[54:55], -v[117:118]
	v_add_f64 v[115:116], v[40:41], v[66:67]
	v_add_f64 v[117:118], v[42:43], v[46:47]
	v_mul_u32_u24_e32 v93, 10, v88
	v_lshl_add_u32 v93, v93, 4, 0
	ds_read_b128 v[24:27], v98 offset:38400
	ds_read_b128 v[36:39], v98 offset:49920
	v_add_f64 v[86:87], v[129:130], -v[131:132]
	v_add_f64 v[113:114], v[58:59], -v[56:57]
	;; [unrolled: 1-line block ×4, first 2 shown]
	v_add_f64 v[123:124], v[48:49], v[60:61]
	v_add_f64 v[125:126], v[50:51], v[44:45]
	v_add_f64 v[127:128], v[48:49], -v[60:61]
	v_add_f64 v[129:130], v[50:51], -v[44:45]
	ds_read_b128 v[60:63], v98 offset:7680
	ds_read_b128 v[40:43], v98 offset:9600
	;; [unrolled: 1-line block ×10, first 2 shown]
	s_waitcnt lgkmcnt(0)
	s_barrier
	ds_write_b128 v93, v[99:102]
	ds_write_b128 v93, v[103:106] offset:16
	ds_write_b128 v93, v[107:110] offset:32
	;; [unrolled: 1-line block ×3, first 2 shown]
	v_add_f64 v[99:100], v[0:1], v[12:13]
	v_add_f64 v[101:102], v[2:3], v[14:15]
	ds_write_b128 v93, v[123:126] offset:64
	ds_write_b128 v93, v[76:79] offset:80
	;; [unrolled: 1-line block ×6, first 2 shown]
	v_add_f64 v[84:85], v[16:17], v[8:9]
	v_add_f64 v[86:87], v[18:19], -v[10:11]
	v_add_f64 v[103:104], v[18:19], v[10:11]
	v_add_f64 v[105:106], v[16:17], -v[8:9]
	v_add_f64 v[107:108], v[18:19], -v[14:15]
	v_add_f64 v[76:77], v[99:100], v[16:17]
	v_add_f64 v[78:79], v[101:102], v[18:19]
	v_add_f64 v[99:100], v[12:13], -v[16:17]
	v_add_f64 v[101:102], v[16:17], -v[12:13]
	;; [unrolled: 1-line block ×4, first 2 shown]
	v_add_f64 v[18:19], v[12:13], v[32:33]
	v_add_f64 v[111:112], v[12:13], -v[32:33]
	v_add_f64 v[76:77], v[76:77], v[8:9]
	v_add_f64 v[78:79], v[78:79], v[10:11]
	;; [unrolled: 1-line block ×3, first 2 shown]
	v_add_f64 v[14:15], v[32:33], -v[8:9]
	v_add_f64 v[115:116], v[8:9], -v[32:33]
	;; [unrolled: 1-line block ×4, first 2 shown]
	v_add_f64 v[113:114], v[60:61], v[72:73]
	v_add_f64 v[10:11], v[76:77], v[32:33]
	;; [unrolled: 1-line block ×6, first 2 shown]
	v_add_f64 v[125:126], v[72:73], -v[64:65]
	v_add_f64 v[127:128], v[74:75], -v[66:67]
	v_add_f64 v[76:77], v[113:114], v[80:81]
	v_add_f64 v[113:114], v[82:83], -v[70:71]
	v_add_f64 v[121:122], v[72:73], -v[80:81]
	v_fma_f64 v[34:35], v[34:35], -0.5, v[62:63]
	v_fma_f64 v[78:79], v[78:79], -0.5, v[60:61]
	v_add_f64 v[8:9], v[8:9], v[82:83]
	v_add_f64 v[123:124], v[80:81], -v[72:73]
	v_add_f64 v[80:81], v[80:81], -v[68:69]
	;; [unrolled: 1-line block ×5, first 2 shown]
	v_fma_f64 v[133:134], v[125:126], s[4:5], v[34:35]
	v_fma_f64 v[137:138], v[127:128], s[10:11], v[78:79]
	v_add_f64 v[82:83], v[82:83], -v[74:75]
	v_add_f64 v[74:75], v[74:75], v[66:67]
	v_add_f64 v[76:77], v[76:77], v[68:69]
	;; [unrolled: 1-line block ×5, first 2 shown]
	v_fma_f64 v[131:132], v[80:81], s[6:7], v[133:134]
	v_fma_f64 v[133:134], v[113:114], s[12:13], v[137:138]
	v_add_f64 v[72:73], v[72:73], v[64:65]
	v_add_f64 v[68:69], v[68:69], -v[64:65]
	v_add_f64 v[70:71], v[70:71], -v[66:67]
	v_add_f64 v[64:65], v[76:77], v[64:65]
	v_fma_f64 v[76:77], v[84:85], -0.5, v[0:1]
	v_fma_f64 v[84:85], v[103:104], -0.5, v[2:3]
	v_add_f64 v[66:67], v[8:9], v[66:67]
	v_fma_f64 v[8:9], v[129:130], s[14:15], v[131:132]
	v_fma_f64 v[103:104], v[18:19], -0.5, v[0:1]
	v_fma_f64 v[18:19], v[121:122], s[14:15], v[133:134]
	v_fma_f64 v[62:63], v[74:75], -0.5, v[62:63]
	v_fma_f64 v[131:132], v[12:13], -0.5, v[2:3]
	v_fma_f64 v[0:1], v[109:110], s[10:11], v[76:77]
	v_fma_f64 v[2:3], v[111:112], s[4:5], v[84:85]
	v_fma_f64 v[60:61], v[72:73], -0.5, v[60:61]
	v_mul_f64 v[12:13], v[8:9], s[12:13]
	v_add_f64 v[72:73], v[99:100], v[14:15]
	v_mul_f64 v[14:15], v[18:19], s[6:7]
	v_add_f64 v[74:75], v[16:17], v[117:118]
	v_fma_f64 v[16:17], v[80:81], s[10:11], v[62:63]
	v_fma_f64 v[99:100], v[86:87], s[12:13], v[0:1]
	v_fma_f64 v[2:3], v[105:106], s[6:7], v[2:3]
	v_add_f64 v[70:71], v[82:83], v[70:71]
	v_fma_f64 v[18:19], v[18:19], s[20:21], v[12:13]
	v_fma_f64 v[12:13], v[113:114], s[4:5], v[60:61]
	v_fma_f64 v[117:118], v[8:9], s[20:21], v[14:15]
	;; [unrolled: 4-line block ×3, first 2 shown]
	v_add_f64 v[2:3], v[32:33], v[66:67]
	v_add_f64 v[68:69], v[123:124], v[68:69]
	v_fma_f64 v[99:100], v[127:128], s[12:13], v[12:13]
	v_add_f64 v[8:9], v[10:11], -v[64:65]
	v_add_f64 v[10:11], v[32:33], -v[66:67]
	v_fma_f64 v[32:33], v[70:71], s[14:15], v[14:15]
	v_fma_f64 v[66:67], v[86:87], s[4:5], v[103:104]
	;; [unrolled: 1-line block ×3, first 2 shown]
	v_add_f64 v[101:102], v[101:102], v[115:116]
	v_add_f64 v[12:13], v[16:17], v[18:19]
	v_fma_f64 v[64:65], v[68:69], s[14:15], v[99:100]
	v_add_f64 v[14:15], v[82:83], v[117:118]
	v_add_f64 v[16:17], v[16:17], -v[18:19]
	v_mul_f64 v[99:100], v[32:33], s[10:11]
	v_mul_f64 v[32:33], v[32:33], s[14:15]
	v_fma_f64 v[66:67], v[109:110], s[12:13], v[66:67]
	v_fma_f64 v[62:63], v[125:126], s[12:13], v[62:63]
	v_add_f64 v[18:19], v[82:83], -v[117:118]
	v_fma_f64 v[82:83], v[86:87], s[10:11], v[103:104]
	v_fma_f64 v[103:104], v[105:106], s[10:11], v[131:132]
	v_add_f64 v[107:108], v[107:108], v[119:120]
	v_fma_f64 v[99:100], v[64:65], s[14:15], v[99:100]
	v_fma_f64 v[64:65], v[64:65], s[4:5], v[32:33]
	;; [unrolled: 1-line block ×20, first 2 shown]
	v_mul_f64 v[80:81], v[62:63], s[10:11]
	v_mul_f64 v[62:63], v[62:63], s[16:17]
	v_fma_f64 v[103:104], v[107:108], s[14:15], v[66:67]
	v_fma_f64 v[66:67], v[86:87], s[6:7], v[76:77]
	;; [unrolled: 1-line block ×4, first 2 shown]
	v_mul_f64 v[84:85], v[78:79], s[12:13]
	v_add_f64 v[34:35], v[101:102], v[64:65]
	v_fma_f64 v[80:81], v[68:69], s[16:17], v[80:81]
	v_fma_f64 v[86:87], v[68:69], s[4:5], v[62:63]
	v_add_f64 v[62:63], v[101:102], -v[64:65]
	v_add_f64 v[105:106], v[6:7], v[22:23]
	v_fma_f64 v[101:102], v[74:75], s[14:15], v[76:77]
	v_mul_f64 v[78:79], v[78:79], s[18:19]
	v_fma_f64 v[76:77], v[70:71], s[18:19], v[84:85]
	v_add_f64 v[84:85], v[4:5], v[20:21]
	v_add_f64 v[64:65], v[82:83], v[80:81]
	v_add_f64 v[68:69], v[82:83], -v[80:81]
	v_add_f64 v[32:33], v[60:61], v[99:100]
	v_add_f64 v[82:83], v[105:106], v[30:31]
	v_add_f64 v[60:61], v[60:61], -v[99:100]
	v_fma_f64 v[99:100], v[72:73], s[14:15], v[66:67]
	v_fma_f64 v[78:79], v[70:71], s[6:7], v[78:79]
	v_add_f64 v[80:81], v[84:85], v[28:29]
	v_add_f64 v[66:67], v[103:104], v[86:87]
	v_add_f64 v[70:71], v[103:104], -v[86:87]
	v_add_f64 v[84:85], v[28:29], v[24:25]
	v_add_f64 v[82:83], v[82:83], v[26:27]
	v_add_f64 v[86:87], v[30:31], -v[26:27]
	v_add_f64 v[72:73], v[99:100], v[76:77]
	v_add_f64 v[74:75], v[101:102], v[78:79]
	;; [unrolled: 1-line block ×3, first 2 shown]
	v_add_f64 v[76:77], v[99:100], -v[76:77]
	v_add_f64 v[78:79], v[101:102], -v[78:79]
	;; [unrolled: 1-line block ×4, first 2 shown]
	v_add_f64 v[103:104], v[30:31], v[26:27]
	v_add_f64 v[105:106], v[28:29], -v[24:25]
	v_add_f64 v[28:29], v[22:23], -v[30:31]
	;; [unrolled: 1-line block ×4, first 2 shown]
	v_add_f64 v[30:31], v[20:21], v[36:37]
	v_add_f64 v[111:112], v[20:21], -v[36:37]
	v_add_f64 v[20:21], v[22:23], v[38:39]
	v_add_f64 v[22:23], v[40:41], v[52:53]
	;; [unrolled: 1-line block ×3, first 2 shown]
	v_add_f64 v[115:116], v[36:37], -v[24:25]
	v_add_f64 v[117:118], v[24:25], -v[36:37]
	;; [unrolled: 1-line block ×4, first 2 shown]
	v_add_f64 v[26:27], v[80:81], v[36:37]
	v_add_f64 v[36:37], v[82:83], v[38:39]
	;; [unrolled: 1-line block ×6, first 2 shown]
	v_add_f64 v[127:128], v[54:55], -v[46:47]
	v_add_f64 v[129:130], v[52:53], -v[44:45]
	v_add_f64 v[113:114], v[58:59], -v[50:51]
	v_add_f64 v[121:122], v[52:53], -v[56:57]
	v_fma_f64 v[80:81], v[80:81], -0.5, v[40:41]
	v_fma_f64 v[82:83], v[82:83], -0.5, v[42:43]
	v_add_f64 v[123:124], v[56:57], -v[52:53]
	v_add_f64 v[56:57], v[56:57], -v[48:49]
	;; [unrolled: 1-line block ×4, first 2 shown]
	v_add_f64 v[54:55], v[54:55], v[46:47]
	v_add_f64 v[22:23], v[22:23], v[48:49]
	v_add_f64 v[131:132], v[44:45], -v[48:49]
	v_add_f64 v[133:134], v[46:47], -v[50:51]
	v_fma_f64 v[135:136], v[129:130], s[4:5], v[82:83]
	v_fma_f64 v[137:138], v[127:128], s[10:11], v[80:81]
	v_add_f64 v[38:39], v[38:39], v[50:51]
	v_add_f64 v[52:53], v[52:53], v[44:45]
	v_add_f64 v[48:49], v[48:49], -v[44:45]
	v_add_f64 v[50:51], v[50:51], -v[46:47]
	v_add_f64 v[22:23], v[22:23], v[44:45]
	v_add_f64 v[44:45], v[121:122], v[131:132]
	;; [unrolled: 1-line block ×3, first 2 shown]
	v_fma_f64 v[125:126], v[56:57], s[6:7], v[135:136]
	v_fma_f64 v[131:132], v[113:114], s[12:13], v[137:138]
	v_fma_f64 v[84:85], v[84:85], -0.5, v[4:5]
	v_fma_f64 v[103:104], v[103:104], -0.5, v[6:7]
	v_add_f64 v[38:39], v[38:39], v[46:47]
	v_fma_f64 v[46:47], v[30:31], -0.5, v[4:5]
	v_fma_f64 v[30:31], v[54:55], -0.5, v[42:43]
	v_fma_f64 v[133:134], v[20:21], -0.5, v[6:7]
	v_fma_f64 v[6:7], v[121:122], s[14:15], v[125:126]
	v_fma_f64 v[20:21], v[44:45], s[14:15], v[131:132]
	;; [unrolled: 1-line block ×4, first 2 shown]
	v_fma_f64 v[40:41], v[52:53], -0.5, v[40:41]
	v_add_f64 v[54:55], v[28:29], v[24:25]
	v_fma_f64 v[24:25], v[56:57], s[10:11], v[30:31]
	v_add_f64 v[52:53], v[99:100], v[115:116]
	v_mul_f64 v[28:29], v[6:7], s[12:13]
	v_mul_f64 v[99:100], v[20:21], s[6:7]
	v_fma_f64 v[115:116], v[86:87], s[12:13], v[4:5]
	v_fma_f64 v[42:43], v[105:106], s[6:7], v[42:43]
	;; [unrolled: 1-line block ×3, first 2 shown]
	v_add_f64 v[50:51], v[58:59], v[50:51]
	v_fma_f64 v[24:25], v[129:130], s[6:7], v[24:25]
	v_add_f64 v[4:5], v[26:27], v[22:23]
	v_fma_f64 v[28:29], v[20:21], s[20:21], v[28:29]
	v_fma_f64 v[58:59], v[6:7], s[20:21], v[99:100]
	v_fma_f64 v[99:100], v[52:53], s[14:15], v[115:116]
	v_fma_f64 v[42:43], v[54:55], s[14:15], v[42:43]
	v_add_f64 v[48:49], v[123:124], v[48:49]
	v_fma_f64 v[115:116], v[127:128], s[12:13], v[125:126]
	v_add_f64 v[6:7], v[36:37], v[38:39]
	v_fma_f64 v[123:124], v[50:51], s[14:15], v[24:25]
	v_add_f64 v[20:21], v[26:27], -v[22:23]
	v_add_f64 v[22:23], v[36:37], -v[38:39]
	v_fma_f64 v[38:39], v[56:57], s[4:5], v[30:31]
	v_add_f64 v[24:25], v[99:100], v[28:29]
	v_add_f64 v[26:27], v[42:43], v[58:59]
	v_add_f64 v[28:29], v[99:100], -v[28:29]
	v_fma_f64 v[36:37], v[48:49], s[14:15], v[115:116]
	v_mul_f64 v[99:100], v[123:124], s[10:11]
	v_add_f64 v[30:31], v[42:43], -v[58:59]
	v_add_f64 v[58:59], v[101:102], v[117:118]
	v_mul_f64 v[101:102], v[123:124], s[14:15]
	v_fma_f64 v[38:39], v[129:130], s[12:13], v[38:39]
	v_fma_f64 v[82:83], v[129:130], s[10:11], v[82:83]
	;; [unrolled: 1-line block ×17, first 2 shown]
	v_add_f64 v[107:108], v[107:108], v[119:120]
	v_fma_f64 v[109:110], v[113:114], s[6:7], v[38:39]
	v_fma_f64 v[56:57], v[121:122], s[14:15], v[56:57]
	;; [unrolled: 1-line block ×5, first 2 shown]
	v_mul_f64 v[48:49], v[46:47], s[10:11]
	v_mul_f64 v[46:47], v[46:47], s[16:17]
	v_fma_f64 v[84:85], v[86:87], s[6:7], v[84:85]
	v_fma_f64 v[86:87], v[105:106], s[12:13], v[103:104]
	;; [unrolled: 1-line block ×3, first 2 shown]
	v_mul_f64 v[103:104], v[56:57], s[12:13]
	v_mul_f64 v[56:57], v[56:57], s[18:19]
	v_fma_f64 v[50:51], v[58:59], s[14:15], v[115:116]
	v_fma_f64 v[42:43], v[107:108], s[14:15], v[42:43]
	v_fma_f64 v[58:59], v[58:59], s[14:15], v[82:83]
	v_fma_f64 v[80:81], v[107:108], s[14:15], v[80:81]
	v_fma_f64 v[82:83], v[40:41], s[4:5], v[46:47]
	v_fma_f64 v[48:49], v[40:41], s[16:17], v[48:49]
	v_fma_f64 v[84:85], v[52:53], s[14:15], v[84:85]
	v_fma_f64 v[86:87], v[54:55], s[14:15], v[86:87]
	v_fma_f64 v[103:104], v[44:45], s[18:19], v[103:104]
	v_fma_f64 v[105:106], v[44:45], s[6:7], v[56:57]
	v_add_f64 v[36:37], v[50:51], v[99:100]
	v_add_f64 v[38:39], v[42:43], v[101:102]
	v_add_f64 v[40:41], v[50:51], -v[99:100]
	v_add_f64 v[46:47], v[80:81], v[82:83]
	v_add_f64 v[50:51], v[80:81], -v[82:83]
	v_mul_i32_i24_e32 v80, 10, v92
	v_add_f64 v[44:45], v[58:59], v[48:49]
	v_lshl_add_u32 v83, v80, 4, 0
	v_add_f64 v[52:53], v[84:85], v[103:104]
	v_add_f64 v[54:55], v[86:87], v[105:106]
	ds_write_b128 v83, v[0:3]
	ds_write_b128 v83, v[12:15] offset:16
	ds_write_b128 v83, v[32:35] offset:32
	;; [unrolled: 1-line block ×9, first 2 shown]
	v_mul_i32_i24_e32 v0, 10, v96
	s_movk_i32 s22, 0xcd
	v_lshl_add_u32 v82, v0, 4, 0
	v_mul_lo_u16_sdwa v0, v88, s22 dst_sel:DWORD dst_unused:UNUSED_PAD src0_sel:BYTE_0 src1_sel:DWORD
	v_add_f64 v[56:57], v[84:85], -v[103:104]
	v_lshrrev_b16_e32 v85, 11, v0
	v_add_f64 v[42:43], v[42:43], -v[101:102]
	v_mul_lo_u16_e32 v0, 10, v85
	v_add_f64 v[48:49], v[58:59], -v[48:49]
	v_add_f64 v[58:59], v[86:87], -v[105:106]
	ds_write_b128 v82, v[4:7]
	ds_write_b128 v82, v[24:27] offset:16
	ds_write_b128 v82, v[36:39] offset:32
	;; [unrolled: 1-line block ×9, first 2 shown]
	v_sub_u16_e32 v86, v88, v0
	v_mov_b32_e32 v40, 9
	v_mul_u32_u24_sdwa v0, v86, v40 dst_sel:DWORD dst_unused:UNUSED_PAD src0_sel:BYTE_0 src1_sel:DWORD
	v_lshlrev_b32_e32 v32, 4, v0
	s_waitcnt lgkmcnt(0)
	s_barrier
	global_load_dwordx4 v[0:3], v32, s[8:9]
	global_load_dwordx4 v[4:7], v32, s[8:9] offset:16
	global_load_dwordx4 v[8:11], v32, s[8:9] offset:32
	global_load_dwordx4 v[12:15], v32, s[8:9] offset:48
	global_load_dwordx4 v[16:19], v32, s[8:9] offset:64
	global_load_dwordx4 v[20:23], v32, s[8:9] offset:80
	global_load_dwordx4 v[24:27], v32, s[8:9] offset:96
	global_load_dwordx4 v[28:31], v32, s[8:9] offset:112
	v_mul_lo_u16_sdwa v33, v92, s22 dst_sel:DWORD dst_unused:UNUSED_PAD src0_sel:BYTE_0 src1_sel:DWORD
	v_lshrrev_b16_e32 v80, 11, v33
	v_mul_lo_u16_e32 v33, 10, v80
	v_sub_u16_e32 v81, v92, v33
	global_load_dwordx4 v[32:35], v32, s[8:9] offset:128
	v_lshl_add_u32 v84, v95, 4, 0
	ds_read_b128 v[36:39], v84
	v_mul_u32_u24_sdwa v40, v81, v40 dst_sel:DWORD dst_unused:UNUSED_PAD src0_sel:BYTE_0 src1_sel:DWORD
	v_lshlrev_b32_e32 v87, 4, v40
	global_load_dwordx4 v[40:43], v87, s[8:9]
	ds_read_b128 v[99:102], v98 offset:32640
	global_load_dwordx4 v[44:47], v87, s[8:9] offset:16
	global_load_dwordx4 v[48:51], v87, s[8:9] offset:32
	;; [unrolled: 1-line block ×4, first 2 shown]
	ds_read_b128 v[56:59], v98 offset:11520
	s_mov_b32 s22, 0xcccd
	v_mul_u32_u24_e32 v85, 0x640, v85
	s_waitcnt vmcnt(13) lgkmcnt(2)
	v_mul_f64 v[60:61], v[38:39], v[2:3]
	v_mul_f64 v[2:3], v[36:37], v[2:3]
	v_fma_f64 v[167:168], v[36:37], v[0:1], v[60:61]
	ds_read_b128 v[103:106], v98 offset:9600
	ds_read_b128 v[60:63], v98 offset:17280
	;; [unrolled: 1-line block ×4, first 2 shown]
	global_load_dwordx4 v[76:79], v87, s[8:9] offset:80
	s_waitcnt vmcnt(13) lgkmcnt(4)
	v_mul_f64 v[36:37], v[58:59], v[6:7]
	v_mul_f64 v[6:7], v[56:57], v[6:7]
	s_waitcnt vmcnt(12) lgkmcnt(2)
	v_mul_f64 v[111:112], v[62:63], v[10:11]
	v_mul_f64 v[10:11], v[60:61], v[10:11]
	;; [unrolled: 3-line block ×3, first 2 shown]
	ds_read_b128 v[107:110], v98 offset:21120
	v_fma_f64 v[169:170], v[38:39], v[0:1], -v[2:3]
	v_fma_f64 v[171:172], v[56:57], v[4:5], v[36:37]
	v_fma_f64 v[173:174], v[58:59], v[4:5], -v[6:7]
	v_fma_f64 v[175:176], v[60:61], v[8:9], v[111:112]
	v_fma_f64 v[177:178], v[62:63], v[8:9], -v[10:11]
	global_load_dwordx4 v[0:3], v87, s[8:9] offset:96
	global_load_dwordx4 v[4:7], v87, s[8:9] offset:112
	global_load_dwordx4 v[8:11], v87, s[8:9] offset:128
	v_mul_u32_u24_sdwa v36, v96, s22 dst_sel:DWORD dst_unused:UNUSED_PAD src0_sel:WORD_0 src1_sel:DWORD
	v_lshrrev_b32_e32 v87, 19, v36
	v_mul_lo_u16_e32 v36, 10, v87
	v_sub_u16_e32 v93, v96, v36
	v_mul_u32_u24_e32 v36, 9, v93
	v_lshlrev_b32_e32 v97, 4, v36
	ds_read_b128 v[36:39], v98 offset:28800
	global_load_dwordx4 v[111:114], v97, s[8:9]
	v_fma_f64 v[179:180], v[72:73], v[12:13], v[115:116]
	v_fma_f64 v[181:182], v[74:75], v[12:13], -v[14:15]
	ds_read_b128 v[12:15], v98 offset:30720
	ds_read_b128 v[56:59], v98 offset:34560
	;; [unrolled: 1-line block ×3, first 2 shown]
	global_load_dwordx4 v[115:118], v97, s[8:9] offset:16
	global_load_dwordx4 v[119:122], v97, s[8:9] offset:32
	s_waitcnt vmcnt(16) lgkmcnt(3)
	v_mul_f64 v[139:140], v[38:39], v[18:19]
	s_waitcnt vmcnt(15) lgkmcnt(1)
	v_mul_f64 v[141:142], v[58:59], v[22:23]
	global_load_dwordx4 v[123:126], v97, s[8:9] offset:48
	global_load_dwordx4 v[131:134], v97, s[8:9] offset:64
	s_waitcnt vmcnt(16) lgkmcnt(0)
	v_mul_f64 v[143:144], v[62:63], v[26:27]
	global_load_dwordx4 v[147:150], v97, s[8:9] offset:112
	global_load_dwordx4 v[151:154], v97, s[8:9] offset:128
	v_mul_f64 v[18:19], v[36:37], v[18:19]
	v_fma_f64 v[183:184], v[36:37], v[16:17], v[139:140]
	v_fma_f64 v[187:188], v[56:57], v[20:21], v[141:142]
	global_load_dwordx4 v[139:142], v97, s[8:9] offset:80
	v_mul_f64 v[22:23], v[56:57], v[22:23]
	v_fma_f64 v[191:192], v[60:61], v[24:25], v[143:144]
	global_load_dwordx4 v[143:146], v97, s[8:9] offset:96
	ds_read_b128 v[135:138], v98 offset:46080
	v_fma_f64 v[185:186], v[38:39], v[16:17], -v[18:19]
	ds_read_b128 v[16:19], v98 offset:48000
	v_mul_f64 v[26:27], v[60:61], v[26:27]
	ds_read_b128 v[72:75], v98 offset:36480
	ds_read_b128 v[127:130], v98 offset:38400
	s_waitcnt vmcnt(19) lgkmcnt(3)
	v_mul_f64 v[36:37], v[137:138], v[30:31]
	v_fma_f64 v[189:190], v[58:59], v[20:21], -v[22:23]
	ds_read_b128 v[20:23], v98 offset:51840
	v_mul_f64 v[30:31], v[135:136], v[30:31]
	v_mov_b32_e32 v97, 4
	v_fma_f64 v[193:194], v[62:63], v[24:25], -v[26:27]
	ds_read_b128 v[155:158], v98 offset:49920
	ds_read_b128 v[24:27], v98 offset:7680
	s_waitcnt vmcnt(18) lgkmcnt(2)
	v_mul_f64 v[38:39], v[22:23], v[34:35]
	v_fma_f64 v[195:196], v[135:136], v[28:29], v[36:37]
	v_mul_f64 v[56:57], v[20:21], v[34:35]
	ds_read_b128 v[159:162], v98
	ds_read_b128 v[34:37], v98 offset:13440
	v_fma_f64 v[197:198], v[137:138], v[28:29], -v[30:31]
	ds_read_b128 v[135:138], v98 offset:15360
	s_waitcnt vmcnt(17) lgkmcnt(3)
	v_mul_f64 v[58:59], v[26:27], v[42:43]
	v_mul_f64 v[42:43], v[24:25], v[42:43]
	s_waitcnt vmcnt(16) lgkmcnt(1)
	v_mul_f64 v[28:29], v[36:37], v[46:47]
	v_mul_f64 v[30:31], v[34:35], v[46:47]
	v_fma_f64 v[199:200], v[20:21], v[32:33], v[38:39]
	v_fma_f64 v[201:202], v[22:23], v[32:33], -v[56:57]
	ds_read_b128 v[20:23], v98 offset:24960
	s_waitcnt vmcnt(15)
	v_mul_f64 v[32:33], v[70:71], v[50:51]
	v_fma_f64 v[56:57], v[24:25], v[40:41], v[58:59]
	v_fma_f64 v[60:61], v[26:27], v[40:41], -v[42:43]
	v_fma_f64 v[46:47], v[34:35], v[44:45], v[28:29]
	v_fma_f64 v[44:45], v[36:37], v[44:45], -v[30:31]
	v_mul_f64 v[28:29], v[68:69], v[50:51]
	s_waitcnt vmcnt(14) lgkmcnt(0)
	v_mul_f64 v[30:31], v[22:23], v[54:55]
	v_mul_f64 v[34:35], v[20:21], v[54:55]
	s_waitcnt vmcnt(13)
	v_mul_f64 v[36:37], v[14:15], v[66:67]
	v_fma_f64 v[58:59], v[68:69], v[48:49], v[32:33]
	v_mul_f64 v[32:33], v[12:13], v[66:67]
	ds_read_b128 v[163:166], v98 offset:55680
	s_waitcnt vmcnt(12)
	v_mul_f64 v[38:39], v[74:75], v[78:79]
	v_mul_f64 v[40:41], v[72:73], v[78:79]
	v_fma_f64 v[68:69], v[70:71], v[48:49], -v[28:29]
	v_fma_f64 v[50:51], v[20:21], v[52:53], v[30:31]
	v_fma_f64 v[48:49], v[22:23], v[52:53], -v[34:35]
	ds_read_b128 v[20:23], v98 offset:42240
	v_fma_f64 v[62:63], v[12:13], v[64:65], v[36:37]
	v_fma_f64 v[70:71], v[14:15], v[64:65], -v[32:33]
	v_fma_f64 v[54:55], v[72:73], v[76:77], v[38:39]
	v_fma_f64 v[52:53], v[74:75], v[76:77], -v[40:41]
	ds_read_b128 v[38:41], v98 offset:44160
	s_waitcnt vmcnt(11) lgkmcnt(1)
	v_mul_f64 v[28:29], v[22:23], v[2:3]
	v_mul_f64 v[2:3], v[20:21], v[2:3]
	ds_read_b128 v[12:15], v98 offset:53760
	s_waitcnt vmcnt(10)
	v_mul_f64 v[30:31], v[18:19], v[6:7]
	v_mul_f64 v[6:7], v[16:17], v[6:7]
	ds_read_b128 v[24:27], v98 offset:26880
	v_lshlrev_b32_sdwa v86, v97, v86 dst_sel:DWORD dst_unused:UNUSED_PAD src0_sel:DWORD src1_sel:BYTE_0
	s_waitcnt vmcnt(9) lgkmcnt(1)
	v_mul_f64 v[32:33], v[14:15], v[10:11]
	v_mul_f64 v[10:11], v[12:13], v[10:11]
	v_fma_f64 v[72:73], v[20:21], v[0:1], v[28:29]
	v_fma_f64 v[76:77], v[22:23], v[0:1], -v[2:3]
	s_waitcnt vmcnt(8)
	v_mul_f64 v[0:1], v[103:104], v[113:114]
	v_fma_f64 v[64:65], v[16:17], v[4:5], v[30:31]
	v_fma_f64 v[66:67], v[18:19], v[4:5], -v[6:7]
	v_mul_f64 v[34:35], v[105:106], v[113:114]
	s_waitcnt vmcnt(7)
	v_mul_f64 v[2:3], v[137:138], v[117:118]
	v_fma_f64 v[78:79], v[14:15], v[8:9], -v[10:11]
	v_mul_f64 v[4:5], v[135:136], v[117:118]
	s_waitcnt vmcnt(6)
	v_mul_f64 v[6:7], v[109:110], v[121:122]
	v_fma_f64 v[28:29], v[105:106], v[111:112], -v[0:1]
	v_mul_f64 v[0:1], v[107:108], v[121:122]
	v_fma_f64 v[74:75], v[12:13], v[8:9], v[32:33]
	s_waitcnt vmcnt(5) lgkmcnt(0)
	v_mul_f64 v[12:13], v[26:27], v[125:126]
	v_fma_f64 v[10:11], v[135:136], v[115:116], v[2:3]
	s_waitcnt vmcnt(4)
	v_mul_f64 v[2:3], v[99:100], v[133:134]
	v_mul_f64 v[20:21], v[24:25], v[125:126]
	;; [unrolled: 1-line block ×3, first 2 shown]
	v_fma_f64 v[8:9], v[137:138], v[115:116], -v[4:5]
	v_fma_f64 v[18:19], v[107:108], v[119:120], v[6:7]
	v_fma_f64 v[32:33], v[109:110], v[119:120], -v[0:1]
	s_waitcnt vmcnt(1)
	v_mul_f64 v[0:1], v[129:130], v[141:142]
	v_mul_f64 v[4:5], v[127:128], v[141:142]
	s_waitcnt vmcnt(0)
	v_mul_f64 v[6:7], v[40:41], v[145:146]
	v_fma_f64 v[36:37], v[101:102], v[131:132], -v[2:3]
	v_mul_f64 v[2:3], v[38:39], v[145:146]
	v_fma_f64 v[16:17], v[103:104], v[111:112], v[34:35]
	v_fma_f64 v[14:15], v[24:25], v[123:124], v[12:13]
	v_fma_f64 v[12:13], v[26:27], v[123:124], -v[20:21]
	v_fma_f64 v[22:23], v[99:100], v[131:132], v[22:23]
	v_mul_f64 v[26:27], v[157:158], v[149:150]
	v_mul_f64 v[42:43], v[155:156], v[149:150]
	;; [unrolled: 1-line block ×3, first 2 shown]
	v_fma_f64 v[24:25], v[127:128], v[139:140], v[0:1]
	v_fma_f64 v[20:21], v[129:130], v[139:140], -v[4:5]
	v_fma_f64 v[34:35], v[38:39], v[143:144], v[6:7]
	v_mul_f64 v[0:1], v[163:164], v[153:154]
	v_fma_f64 v[40:41], v[40:41], v[143:144], -v[2:3]
	v_add_f64 v[2:3], v[179:180], v[187:188]
	v_add_f64 v[4:5], v[159:160], v[171:172]
	;; [unrolled: 1-line block ×4, first 2 shown]
	v_fma_f64 v[30:31], v[155:156], v[147:148], v[26:27]
	v_fma_f64 v[26:27], v[157:158], v[147:148], -v[42:43]
	v_fma_f64 v[38:39], v[163:164], v[151:152], v[99:100]
	v_fma_f64 v[42:43], v[165:166], v[151:152], -v[0:1]
	v_add_f64 v[0:1], v[181:182], v[189:190]
	v_add_f64 v[99:100], v[161:162], v[173:174]
	;; [unrolled: 1-line block ×3, first 2 shown]
	v_fma_f64 v[111:112], v[2:3], -0.5, v[159:160]
	v_add_f64 v[2:3], v[4:5], v[179:180]
	v_fma_f64 v[107:108], v[6:7], -0.5, v[159:160]
	v_add_f64 v[4:5], v[185:186], v[193:194]
	v_add_f64 v[6:7], v[101:102], v[183:184]
	v_fma_f64 v[113:114], v[0:1], -0.5, v[161:162]
	v_add_f64 v[0:1], v[99:100], v[181:182]
	v_add_f64 v[99:100], v[103:104], v[185:186]
	;; [unrolled: 1-line block ×4, first 2 shown]
	v_add_f64 v[109:110], v[175:176], -v[199:200]
	v_fma_f64 v[105:106], v[4:5], -0.5, v[169:170]
	v_add_f64 v[4:5], v[6:7], v[191:192]
	v_add_f64 v[101:102], v[173:174], v[197:198]
	;; [unrolled: 1-line block ×4, first 2 shown]
	v_add_f64 v[99:100], v[177:178], -v[185:186]
	v_add_f64 v[115:116], v[201:202], -v[193:194]
	v_fma_f64 v[117:118], v[103:104], -0.5, v[167:168]
	v_add_f64 v[119:120], v[177:178], -v[201:202]
	v_fma_f64 v[103:104], v[109:110], s[4:5], v[105:106]
	v_add_f64 v[121:122], v[183:184], -v[191:192]
	v_add_f64 v[2:3], v[2:3], v[195:196]
	v_add_f64 v[123:124], v[4:5], v[199:200]
	v_add_f64 v[125:126], v[175:176], -v[183:184]
	v_add_f64 v[127:128], v[199:200], -v[191:192]
	v_add_f64 v[115:116], v[99:100], v[115:116]
	v_fma_f64 v[99:100], v[119:120], s[10:11], v[117:118]
	v_add_f64 v[129:130], v[185:186], -v[193:194]
	v_fma_f64 v[103:104], v[121:122], s[6:7], v[103:104]
	v_fma_f64 v[131:132], v[101:102], -0.5, v[161:162]
	v_add_f64 v[101:102], v[0:1], v[197:198]
	v_add_f64 v[4:5], v[2:3], v[123:124]
	v_add_f64 v[135:136], v[171:172], -v[179:180]
	v_add_f64 v[125:126], v[125:126], v[127:128]
	v_add_f64 v[127:128], v[195:196], -v[187:188]
	v_add_f64 v[137:138], v[173:174], -v[181:182]
	;; [unrolled: 1-line block ×4, first 2 shown]
	v_add_f64 v[2:3], v[177:178], v[201:202]
	v_fma_f64 v[99:100], v[129:130], s[12:13], v[99:100]
	v_fma_f64 v[103:104], v[115:116], s[14:15], v[103:104]
	v_add_f64 v[141:142], v[173:174], -v[197:198]
	v_add_f64 v[127:128], v[135:136], v[127:128]
	v_add_f64 v[147:148], v[185:186], -v[177:178]
	v_add_f64 v[135:136], v[137:138], v[139:140]
	v_add_f64 v[137:138], v[175:176], v[199:200]
	v_fma_f64 v[139:140], v[2:3], -0.5, v[169:170]
	v_fma_f64 v[99:100], v[125:126], s[14:15], v[99:100]
	v_mul_f64 v[123:124], v[103:104], s[12:13]
	v_mul_f64 v[103:104], v[103:104], s[20:21]
	v_add_f64 v[149:150], v[193:194], -v[201:202]
	v_fma_f64 v[2:3], v[141:142], s[10:11], v[111:112]
	v_add_f64 v[145:146], v[181:182], -v[189:190]
	v_fma_f64 v[137:138], v[137:138], -0.5, v[167:168]
	v_fma_f64 v[151:152], v[121:122], s[10:11], v[139:140]
	v_add_f64 v[159:160], v[179:180], -v[171:172]
	v_fma_f64 v[123:124], v[99:100], s[20:21], v[123:124]
	v_fma_f64 v[157:158], v[99:100], s[6:7], v[103:104]
	v_add_f64 v[99:100], v[183:184], -v[175:176]
	v_add_f64 v[103:104], v[191:192], -v[199:200]
	v_add_f64 v[147:148], v[147:148], v[149:150]
	v_fma_f64 v[149:150], v[129:130], s[4:5], v[137:138]
	v_fma_f64 v[151:152], v[109:110], s[6:7], v[151:152]
	v_fma_f64 v[2:3], v[145:146], s[12:13], v[2:3]
	v_add_f64 v[161:162], v[187:188], -v[195:196]
	v_add_f64 v[133:134], v[6:7], v[201:202]
	v_add_f64 v[163:164], v[181:182], -v[173:174]
	v_add_f64 v[165:166], v[99:100], v[103:104]
	v_fma_f64 v[139:140], v[121:122], s[4:5], v[139:140]
	v_fma_f64 v[99:100], v[119:120], s[12:13], v[149:150]
	;; [unrolled: 1-line block ×3, first 2 shown]
	v_add_f64 v[149:150], v[189:190], -v[197:198]
	v_fma_f64 v[151:152], v[127:128], s[14:15], v[2:3]
	v_fma_f64 v[2:3], v[145:146], s[4:5], v[107:108]
	v_add_f64 v[159:160], v[159:160], v[161:162]
	v_add_f64 v[6:7], v[101:102], v[133:134]
	v_add_f64 v[143:144], v[171:172], -v[195:196]
	v_fma_f64 v[161:162], v[165:166], s[14:15], v[99:100]
	v_mul_f64 v[169:170], v[103:104], s[10:11]
	v_mul_f64 v[103:104], v[103:104], s[14:15]
	v_add_f64 v[149:150], v[163:164], v[149:150]
	v_fma_f64 v[163:164], v[141:142], s[12:13], v[2:3]
	v_add_f64 v[2:3], v[101:102], -v[133:134]
	v_add_f64 v[99:100], v[151:152], v[123:124]
	v_add_f64 v[155:156], v[179:180], -v[187:188]
	v_fma_f64 v[137:138], v[129:130], s[10:11], v[137:138]
	v_fma_f64 v[133:134], v[161:162], s[14:15], v[169:170]
	;; [unrolled: 1-line block ×3, first 2 shown]
	v_add_f64 v[103:104], v[151:152], -v[123:124]
	v_fma_f64 v[123:124], v[109:110], s[10:11], v[105:106]
	v_fma_f64 v[139:140], v[109:110], s[12:13], v[139:140]
	;; [unrolled: 1-line block ×19, first 2 shown]
	v_mul_f64 v[123:124], v[131:132], s[10:11]
	v_mul_f64 v[129:130], v[131:132], s[16:17]
	v_fma_f64 v[111:112], v[145:146], s[6:7], v[111:112]
	v_fma_f64 v[113:114], v[155:156], s[12:13], v[113:114]
	;; [unrolled: 1-line block ×3, first 2 shown]
	v_mul_f64 v[125:126], v[115:116], s[12:13]
	v_mul_f64 v[115:116], v[115:116], s[18:19]
	v_fma_f64 v[153:154], v[135:136], s[14:15], v[153:154]
	v_fma_f64 v[163:164], v[159:160], s[14:15], v[163:164]
	;; [unrolled: 1-line block ×11, first 2 shown]
	v_add_f64 v[101:102], v[153:154], v[157:158]
	v_add_f64 v[107:108], v[163:164], v[133:134]
	;; [unrolled: 1-line block ×5, first 2 shown]
	v_add_f64 v[119:120], v[131:132], -v[123:124]
	v_add_f64 v[123:124], v[127:128], v[137:138]
	v_add_f64 v[125:126], v[135:136], v[139:140]
	v_add_f64 v[105:106], v[153:154], -v[157:158]
	s_movk_i32 s22, 0xff70
	v_add_f64 v[121:122], v[121:122], -v[129:130]
	v_add_f64 v[129:130], v[135:136], -v[139:140]
	v_add3_u32 v139, 0, v85, v86
	v_mad_i32_i24 v86, v92, s22, v83
	v_add_f64 v[111:112], v[163:164], -v[133:134]
	v_add_f64 v[127:128], v[127:128], -v[137:138]
	v_mad_i32_i24 v85, v96, s22, v82
	ds_read_b128 v[131:134], v86
	ds_read_b128 v[135:138], v85
	s_waitcnt lgkmcnt(0)
	s_barrier
	ds_write_b128 v139, v[4:7]
	ds_write_b128 v139, v[99:102] offset:160
	ds_write_b128 v139, v[107:110] offset:320
	;; [unrolled: 1-line block ×6, first 2 shown]
	v_add_f64 v[2:3], v[50:51], v[54:55]
	v_add_f64 v[4:5], v[46:47], v[64:65]
	;; [unrolled: 1-line block ×3, first 2 shown]
	v_add_f64 v[113:114], v[167:168], -v[161:162]
	v_add_f64 v[117:118], v[68:69], -v[78:79]
	v_add_f64 v[0:1], v[131:132], v[46:47]
	ds_write_b128 v139, v[111:114] offset:1120
	ds_write_b128 v139, v[119:122] offset:1280
	v_fma_f64 v[107:108], v[2:3], -0.5, v[131:132]
	v_add_f64 v[2:3], v[6:7], v[62:63]
	v_fma_f64 v[109:110], v[4:5], -0.5, v[131:132]
	v_add_f64 v[4:5], v[62:63], v[72:73]
	v_add_f64 v[103:104], v[48:49], v[52:53]
	;; [unrolled: 1-line block ×3, first 2 shown]
	ds_write_b128 v139, v[127:130] offset:1440
	v_add_f64 v[119:120], v[74:75], -v[72:73]
	v_add_f64 v[131:132], v[70:71], -v[76:77]
	v_add_f64 v[2:3], v[2:3], v[72:73]
	v_add_f64 v[99:100], v[133:134], v[44:45]
	v_fma_f64 v[115:116], v[4:5], -0.5, v[56:57]
	v_add_f64 v[101:102], v[60:61], v[68:69]
	v_fma_f64 v[103:104], v[103:104], -0.5, v[133:134]
	v_fma_f64 v[105:106], v[105:106], -0.5, v[133:134]
	v_add_f64 v[133:134], v[64:65], -v[54:55]
	v_add_f64 v[141:142], v[44:45], -v[48:49]
	v_add_f64 v[4:5], v[2:3], v[74:75]
	v_add_f64 v[2:3], v[58:59], -v[62:63]
	v_fma_f64 v[129:130], v[117:118], s[10:11], v[115:116]
	v_add_f64 v[143:144], v[66:67], -v[52:53]
	v_add_f64 v[147:148], v[68:69], v[78:79]
	v_add_f64 v[6:7], v[99:100], v[48:49]
	;; [unrolled: 1-line block ×4, first 2 shown]
	v_add_f64 v[127:128], v[62:63], -v[72:73]
	v_add_f64 v[119:120], v[2:3], v[119:120]
	v_fma_f64 v[2:3], v[131:132], s[12:13], v[129:130]
	v_add_f64 v[129:130], v[46:47], -v[50:51]
	v_add_f64 v[141:142], v[141:142], v[143:144]
	v_fma_f64 v[143:144], v[147:148], -0.5, v[60:61]
	v_add_f64 v[99:100], v[99:100], v[76:77]
	v_fma_f64 v[101:102], v[101:102], -0.5, v[60:61]
	v_add_f64 v[113:114], v[58:59], -v[74:75]
	v_add_f64 v[121:122], v[68:69], -v[70:71]
	;; [unrolled: 1-line block ×3, first 2 shown]
	v_add_f64 v[129:130], v[129:130], v[133:134]
	v_add_f64 v[133:134], v[58:59], v[74:75]
	v_add_f64 v[68:69], v[70:71], -v[68:69]
	v_add_f64 v[0:1], v[0:1], v[50:51]
	v_add_f64 v[58:59], v[62:63], -v[58:59]
	v_fma_f64 v[125:126], v[113:114], s[4:5], v[101:102]
	v_add_f64 v[62:63], v[72:73], -v[74:75]
	v_add_f64 v[6:7], v[6:7], v[52:53]
	v_add_f64 v[121:122], v[121:122], v[123:124]
	v_fma_f64 v[70:71], v[133:134], -0.5, v[56:57]
	v_add_f64 v[56:57], v[76:77], -v[78:79]
	v_fma_f64 v[76:77], v[127:128], s[10:11], v[143:144]
	v_add_f64 v[0:1], v[0:1], v[54:55]
	v_fma_f64 v[123:124], v[127:128], s[6:7], v[125:126]
	v_add_f64 v[125:126], v[44:45], -v[66:67]
	v_add_f64 v[139:140], v[46:47], -v[64:65]
	;; [unrolled: 1-line block ×3, first 2 shown]
	v_fma_f64 v[72:73], v[131:132], s[4:5], v[70:71]
	v_add_f64 v[68:69], v[68:69], v[56:57]
	v_fma_f64 v[74:75], v[113:114], s[6:7], v[76:77]
	v_add_f64 v[76:77], v[58:59], v[62:63]
	v_add_f64 v[44:45], v[48:49], -v[44:45]
	v_add_f64 v[48:49], v[52:53], -v[66:67]
	v_add_f64 v[111:112], v[0:1], v[64:65]
	v_add_f64 v[6:7], v[6:7], v[66:67]
	v_fma_f64 v[62:63], v[117:118], s[12:13], v[72:73]
	v_fma_f64 v[123:124], v[121:122], s[14:15], v[123:124]
	;; [unrolled: 1-line block ×5, first 2 shown]
	v_add_f64 v[153:154], v[50:51], -v[54:55]
	v_add_f64 v[46:47], v[50:51], -v[46:47]
	;; [unrolled: 1-line block ×3, first 2 shown]
	v_fma_f64 v[52:53], v[76:77], s[14:15], v[62:63]
	v_fma_f64 v[54:55], v[149:150], s[4:5], v[109:110]
	v_mul_f64 v[64:65], v[72:73], s[10:11]
	v_fma_f64 v[66:67], v[149:150], s[10:11], v[109:110]
	v_add_f64 v[48:49], v[44:45], v[48:49]
	v_fma_f64 v[44:45], v[127:128], s[4:5], v[143:144]
	v_fma_f64 v[2:3], v[119:120], s[14:15], v[2:3]
	v_mul_f64 v[155:156], v[123:124], s[12:13]
	v_mul_f64 v[60:61], v[123:124], s[20:21]
	v_fma_f64 v[123:124], v[149:150], s[12:13], v[145:146]
	v_fma_f64 v[145:146], v[153:154], s[6:7], v[151:152]
	v_add_f64 v[46:47], v[46:47], v[50:51]
	v_fma_f64 v[50:51], v[125:126], s[12:13], v[54:55]
	v_fma_f64 v[54:55], v[52:53], s[14:15], v[64:65]
	;; [unrolled: 1-line block ×4, first 2 shown]
	v_mul_f64 v[72:73], v[72:73], s[14:15]
	v_fma_f64 v[70:71], v[131:132], s[10:11], v[70:71]
	v_fma_f64 v[44:45], v[113:114], s[12:13], v[44:45]
	v_add_f64 v[99:100], v[99:100], v[78:79]
	v_fma_f64 v[78:79], v[2:3], s[6:7], v[60:61]
	v_fma_f64 v[60:61], v[129:130], s[14:15], v[123:124]
	;; [unrolled: 1-line block ×12, first 2 shown]
	v_add_f64 v[58:59], v[123:124], v[78:79]
	v_add_f64 v[62:63], v[123:124], -v[78:79]
	v_fma_f64 v[68:69], v[125:126], s[4:5], v[107:108]
	v_fma_f64 v[78:79], v[139:140], s[10:11], v[103:104]
	;; [unrolled: 1-line block ×6, first 2 shown]
	v_add_f64 v[2:3], v[6:7], v[99:100]
	v_add_f64 v[6:7], v[6:7], -v[99:100]
	v_fma_f64 v[74:75], v[139:140], s[12:13], v[74:75]
	v_fma_f64 v[70:71], v[76:77], s[14:15], v[70:71]
	v_mul_f64 v[76:77], v[44:45], s[10:11]
	v_mul_f64 v[99:100], v[44:45], s[16:17]
	v_fma_f64 v[68:69], v[149:150], s[6:7], v[68:69]
	v_fma_f64 v[78:79], v[153:154], s[12:13], v[78:79]
	;; [unrolled: 1-line block ×3, first 2 shown]
	v_mul_f64 v[103:104], v[66:67], s[12:13]
	v_mul_f64 v[66:67], v[66:67], s[18:19]
	v_fma_f64 v[72:73], v[48:49], s[14:15], v[72:73]
	v_fma_f64 v[74:75], v[48:49], s[14:15], v[74:75]
	;; [unrolled: 1-line block ×8, first 2 shown]
	v_add_f64 v[0:1], v[111:112], v[4:5]
	v_add_f64 v[56:57], v[60:61], v[147:148]
	;; [unrolled: 1-line block ×4, first 2 shown]
	v_add_f64 v[48:49], v[50:51], -v[54:55]
	v_add_f64 v[50:51], v[72:73], -v[52:53]
	v_add_f64 v[52:53], v[64:65], v[76:77]
	v_add_f64 v[54:55], v[74:75], v[70:71]
	v_add_f64 v[66:67], v[74:75], -v[70:71]
	v_add_f64 v[68:69], v[99:100], v[103:104]
	v_add_f64 v[70:71], v[78:79], v[101:102]
	v_add_f64 v[4:5], v[111:112], -v[4:5]
	v_add_f64 v[60:61], v[60:61], -v[147:148]
	;; [unrolled: 1-line block ×3, first 2 shown]
	v_mul_u32_u24_e32 v76, 0x640, v80
	v_lshlrev_b32_sdwa v77, v97, v81 dst_sel:DWORD dst_unused:UNUSED_PAD src0_sel:DWORD src1_sel:BYTE_0
	v_add3_u32 v76, 0, v76, v77
	ds_write_b128 v76, v[0:3]
	ds_write_b128 v76, v[56:59] offset:160
	ds_write_b128 v76, v[44:47] offset:320
	;; [unrolled: 1-line block ×8, first 2 shown]
	v_add_f64 v[0:1], v[14:15], v[24:25]
	v_add_f64 v[2:3], v[135:136], v[10:11]
	;; [unrolled: 1-line block ×7, first 2 shown]
	v_add_f64 v[72:73], v[99:100], -v[103:104]
	v_fma_f64 v[50:51], v[0:1], -0.5, v[135:136]
	v_add_f64 v[0:1], v[2:3], v[14:15]
	v_fma_f64 v[52:53], v[4:5], -0.5, v[135:136]
	v_add_f64 v[2:3], v[36:37], v[40:41]
	;; [unrolled: 2-line block ×3, first 2 shown]
	v_add_f64 v[6:7], v[46:47], v[22:23]
	v_add_f64 v[74:75], v[78:79], -v[101:102]
	v_add_f64 v[44:45], v[48:49], v[36:37]
	v_add_f64 v[0:1], v[0:1], v[24:25]
	;; [unrolled: 1-line block ×3, first 2 shown]
	v_fma_f64 v[56:57], v[2:3], -0.5, v[28:29]
	v_add_f64 v[58:59], v[18:19], -v[38:39]
	v_add_f64 v[2:3], v[4:5], v[20:21]
	v_add_f64 v[4:5], v[6:7], v[34:35]
	ds_write_b128 v76, v[72:75] offset:1440
	v_add_f64 v[6:7], v[44:45], v[40:41]
	v_add_f64 v[44:45], v[32:33], -v[36:37]
	v_add_f64 v[60:61], v[42:43], -v[40:41]
	v_fma_f64 v[48:49], v[48:49], -0.5, v[16:17]
	v_add_f64 v[62:63], v[32:33], -v[42:43]
	v_fma_f64 v[64:65], v[58:59], s[4:5], v[56:57]
	v_add_f64 v[66:67], v[22:23], -v[34:35]
	v_add_f64 v[68:69], v[0:1], v[30:31]
	v_add_f64 v[4:5], v[4:5], v[38:39]
	v_add_f64 v[70:71], v[18:19], -v[22:23]
	v_add_f64 v[72:73], v[38:39], -v[34:35]
	v_add_f64 v[44:45], v[44:45], v[60:61]
	v_fma_f64 v[60:61], v[62:63], s[10:11], v[48:49]
	v_add_f64 v[74:75], v[36:37], -v[40:41]
	v_fma_f64 v[64:65], v[66:67], s[6:7], v[64:65]
	v_add_f64 v[78:79], v[10:11], -v[14:15]
	v_add_f64 v[0:1], v[68:69], v[4:5]
	v_add_f64 v[80:81], v[8:9], -v[12:13]
	v_add_f64 v[70:71], v[70:71], v[72:73]
	v_add_f64 v[72:73], v[30:31], -v[24:25]
	v_add_f64 v[99:100], v[26:27], -v[20:21]
	;; [unrolled: 1-line block ×3, first 2 shown]
	v_add_f64 v[68:69], v[32:33], v[42:43]
	v_fma_f64 v[60:61], v[74:75], s[12:13], v[60:61]
	v_fma_f64 v[64:65], v[44:45], s[14:15], v[64:65]
	v_add_f64 v[103:104], v[8:9], -v[26:27]
	v_add_f64 v[32:33], v[36:37], -v[32:33]
	v_add_f64 v[72:73], v[78:79], v[72:73]
	v_add_f64 v[78:79], v[80:81], v[99:100]
	;; [unrolled: 1-line block ×3, first 2 shown]
	v_fma_f64 v[28:29], v[68:69], -0.5, v[28:29]
	v_fma_f64 v[60:61], v[70:71], s[14:15], v[60:61]
	v_mul_f64 v[101:102], v[64:65], s[12:13]
	v_add_f64 v[36:37], v[40:41], -v[42:43]
	v_add_f64 v[68:69], v[10:11], -v[30:31]
	;; [unrolled: 1-line block ×4, first 2 shown]
	v_fma_f64 v[16:17], v[80:81], -0.5, v[16:17]
	v_fma_f64 v[40:41], v[66:67], s[10:11], v[28:29]
	v_add_f64 v[22:23], v[34:35], -v[38:39]
	v_fma_f64 v[99:100], v[60:61], s[20:21], v[101:102]
	v_fma_f64 v[101:102], v[103:104], s[10:11], v[50:51]
	v_add_f64 v[32:33], v[32:33], v[36:37]
	v_add_f64 v[6:7], v[6:7], v[42:43]
	v_fma_f64 v[42:43], v[68:69], s[4:5], v[54:55]
	v_fma_f64 v[34:35], v[74:75], s[4:5], v[16:17]
	;; [unrolled: 1-line block ×3, first 2 shown]
	v_add_f64 v[80:81], v[14:15], -v[24:25]
	v_add_f64 v[46:47], v[8:9], v[26:27]
	v_fma_f64 v[38:39], v[105:106], s[12:13], v[101:102]
	v_add_f64 v[10:11], v[14:15], -v[10:11]
	v_add_f64 v[14:15], v[24:25], -v[30:31]
	;; [unrolled: 1-line block ×3, first 2 shown]
	v_add_f64 v[22:23], v[18:19], v[22:23]
	v_fma_f64 v[12:13], v[62:63], s[12:13], v[34:35]
	v_fma_f64 v[18:19], v[32:33], s[14:15], v[36:37]
	v_mul_f64 v[64:65], v[64:65], s[20:21]
	v_fma_f64 v[40:41], v[80:81], s[6:7], v[42:43]
	v_add_f64 v[20:21], v[20:21], -v[26:27]
	v_fma_f64 v[24:25], v[72:73], s[14:15], v[38:39]
	v_add_f64 v[36:37], v[10:11], v[14:15]
	v_fma_f64 v[28:29], v[66:67], s[4:5], v[28:29]
	v_fma_f64 v[12:13], v[22:23], s[14:15], v[12:13]
	v_mul_f64 v[14:15], v[18:19], s[10:11]
	v_mul_f64 v[18:19], v[18:19], s[14:15]
	v_fma_f64 v[60:61], v[60:61], s[6:7], v[64:65]
	v_fma_f64 v[34:35], v[78:79], s[14:15], v[40:41]
	v_add_f64 v[20:21], v[8:9], v[20:21]
	v_add_f64 v[8:9], v[24:25], v[99:100]
	v_fma_f64 v[46:47], v[46:47], -0.5, v[137:138]
	v_fma_f64 v[28:29], v[58:59], s[12:13], v[28:29]
	v_fma_f64 v[38:39], v[12:13], s[14:15], v[14:15]
	;; [unrolled: 1-line block ×3, first 2 shown]
	v_add_f64 v[12:13], v[24:25], -v[99:100]
	v_fma_f64 v[24:25], v[58:59], s[10:11], v[56:57]
	v_add_f64 v[10:11], v[34:35], v[60:61]
	v_add_f64 v[14:15], v[34:35], -v[60:61]
	v_fma_f64 v[34:35], v[74:75], s[10:11], v[16:17]
	v_fma_f64 v[42:43], v[105:106], s[10:11], v[52:53]
	;; [unrolled: 1-line block ×3, first 2 shown]
	v_add_f64 v[76:77], v[2:3], v[26:27]
	v_fma_f64 v[26:27], v[105:106], s[4:5], v[52:53]
	v_fma_f64 v[24:25], v[66:67], s[12:13], v[24:25]
	;; [unrolled: 1-line block ×15, first 2 shown]
	v_mul_f64 v[34:35], v[28:29], s[10:11]
	v_mul_f64 v[28:29], v[28:29], s[16:17]
	v_fma_f64 v[42:43], v[105:106], s[6:7], v[42:43]
	v_fma_f64 v[46:47], v[80:81], s[12:13], v[50:51]
	;; [unrolled: 1-line block ×3, first 2 shown]
	v_mul_f64 v[50:51], v[24:25], s[12:13]
	v_mul_f64 v[24:25], v[24:25], s[18:19]
	v_fma_f64 v[26:27], v[36:37], s[14:15], v[26:27]
	v_fma_f64 v[30:31], v[20:21], s[14:15], v[30:31]
	;; [unrolled: 1-line block ×10, first 2 shown]
	v_add_f64 v[2:3], v[76:77], v[6:7]
	v_add_f64 v[16:17], v[26:27], v[38:39]
	;; [unrolled: 1-line block ×3, first 2 shown]
	v_add_f64 v[20:21], v[26:27], -v[38:39]
	v_add_f64 v[24:25], v[32:33], v[34:35]
	v_add_f64 v[26:27], v[36:37], v[44:45]
	v_add_f64 v[28:29], v[32:33], -v[34:35]
	v_add_f64 v[32:33], v[42:43], v[50:51]
	v_add_f64 v[34:35], v[46:47], v[48:49]
	v_add_f64 v[6:7], v[76:77], -v[6:7]
	v_add_f64 v[22:23], v[30:31], -v[40:41]
	v_mul_u32_u24_e32 v40, 0x640, v87
	v_lshlrev_b32_e32 v41, 4, v93
	v_add3_u32 v40, 0, v40, v41
	s_movk_i32 s4, 0x64
	v_add_f64 v[30:31], v[36:37], -v[44:45]
	v_add_f64 v[36:37], v[42:43], -v[50:51]
	;; [unrolled: 1-line block ×3, first 2 shown]
	ds_write_b128 v40, v[0:3]
	ds_write_b128 v40, v[8:11] offset:160
	ds_write_b128 v40, v[16:19] offset:320
	;; [unrolled: 1-line block ×9, first 2 shown]
	v_add_u32_e32 v0, 0xffffff9c, v88
	v_cmp_gt_u32_e32 vcc, s4, v88
	v_cndmask_b32_e32 v87, v0, v88, vcc
	v_mul_i32_i24_e32 v36, 5, v87
	v_mov_b32_e32 v37, 0
	v_lshlrev_b64 v[0:1], 4, v[36:37]
	v_mov_b32_e32 v93, s9
	v_add_co_u32_e32 v20, vcc, s8, v0
	v_addc_co_u32_e32 v21, vcc, v93, v1, vcc
	s_waitcnt lgkmcnt(0)
	s_barrier
	global_load_dwordx4 v[4:7], v[20:21], off offset:1440
	global_load_dwordx4 v[12:15], v[20:21], off offset:1456
	;; [unrolled: 1-line block ×5, first 2 shown]
	v_mov_b32_e32 v20, 41
	v_mul_lo_u16_sdwa v20, v92, v20 dst_sel:DWORD dst_unused:UNUSED_PAD src0_sel:BYTE_0 src1_sel:DWORD
	v_lshrrev_b16_e32 v99, 12, v20
	v_mul_lo_u16_e32 v20, 0x64, v99
	v_sub_u16_e32 v100, v92, v20
	v_mov_b32_e32 v20, 5
	v_mul_u32_u24_sdwa v20, v100, v20 dst_sel:DWORD dst_unused:UNUSED_PAD src0_sel:BYTE_0 src1_sel:DWORD
	v_lshlrev_b32_e32 v36, 4, v20
	global_load_dwordx4 v[20:23], v36, s[8:9] offset:1440
	global_load_dwordx4 v[24:27], v36, s[8:9] offset:1456
	;; [unrolled: 1-line block ×5, first 2 shown]
	v_lshrrev_b16_e32 v36, 2, v96
	v_mul_u32_u24_e32 v36, 0x147b, v36
	v_lshrrev_b32_e32 v36, 17, v36
	v_mul_lo_u16_e32 v46, 0x64, v36
	v_sub_u16_e32 v105, v96, v46
	v_mul_u32_u24_e32 v46, 5, v105
	v_lshlrev_b32_e32 v70, 4, v46
	ds_read_b128 v[42:45], v98 offset:9600
	ds_read_b128 v[106:109], v98
	ds_read_b128 v[46:49], v98 offset:19200
	global_load_dwordx4 v[52:55], v70, s[8:9] offset:1440
	global_load_dwordx4 v[56:59], v70, s[8:9] offset:1456
	;; [unrolled: 1-line block ×4, first 2 shown]
	v_lshrrev_b16_e32 v71, 2, v95
	v_mul_u32_u24_e32 v71, 0x147b, v71
	v_lshrrev_b32_e32 v103, 17, v71
	v_mul_lo_u16_e32 v71, 0x64, v103
	v_sub_u16_e32 v104, v95, v71
	global_load_dwordx4 v[118:121], v70, s[8:9] offset:1504
	v_mul_u32_u24_e32 v70, 5, v104
	v_lshlrev_b32_e32 v74, 4, v70
	global_load_dwordx4 v[122:125], v74, s[8:9] offset:1440
	global_load_dwordx4 v[126:129], v74, s[8:9] offset:1456
	ds_read_b128 v[62:65], v98 offset:21120
	ds_read_b128 v[66:69], v98 offset:28800
	;; [unrolled: 1-line block ×4, first 2 shown]
	s_mov_b32 s6, 0xe8584caa
	s_mov_b32 s7, 0xbfebb67a
	;; [unrolled: 1-line block ×4, first 2 shown]
	s_movk_i32 s10, 0x63
	v_cmp_lt_u32_e32 vcc, s10, v88
	v_lshlrev_b32_e32 v87, 4, v87
	v_lshlrev_b32_sdwa v97, v97, v100 dst_sel:DWORD dst_unused:UNUSED_PAD src0_sel:DWORD src1_sel:BYTE_0
	v_mul_u32_u24_e32 v99, 0x2580, v99
	v_add3_u32 v97, 0, v99, v97
	v_mul_u32_u24_e32 v36, 0x2580, v36
	s_movk_i32 s10, 0x2000
	s_movk_i32 s11, 0x24e0
	s_waitcnt vmcnt(16) lgkmcnt(6)
	v_mul_f64 v[50:51], v[44:45], v[6:7]
	v_mul_f64 v[6:7], v[42:43], v[6:7]
	s_waitcnt vmcnt(14) lgkmcnt(2)
	v_mul_f64 v[60:61], v[68:69], v[2:3]
	v_mul_f64 v[2:3], v[66:67], v[2:3]
	v_fma_f64 v[166:167], v[42:43], v[4:5], v[50:51]
	v_mul_f64 v[50:51], v[48:49], v[14:15]
	v_mul_f64 v[14:15], v[46:47], v[14:15]
	v_fma_f64 v[168:169], v[44:45], v[4:5], -v[6:7]
	ds_read_b128 v[4:7], v98 offset:26880
	ds_read_b128 v[42:45], v98 offset:48000
	v_fma_f64 v[174:175], v[66:67], v[0:1], v[60:61]
	v_fma_f64 v[176:177], v[68:69], v[0:1], -v[2:3]
	v_fma_f64 v[170:171], v[46:47], v[12:13], v[50:51]
	v_lshrrev_b16_e32 v50, 2, v94
	v_fma_f64 v[172:173], v[48:49], v[12:13], -v[14:15]
	ds_read_b128 v[12:15], v98 offset:40320
	global_load_dwordx4 v[134:137], v74, s[8:9] offset:1472
	global_load_dwordx4 v[138:141], v74, s[8:9] offset:1488
	;; [unrolled: 1-line block ×3, first 2 shown]
	v_mul_u32_u24_e32 v50, 0x147b, v50
	v_lshrrev_b32_e32 v101, 17, v50
	v_mul_lo_u16_e32 v50, 0x64, v101
	v_sub_u16_e32 v102, v94, v50
	v_mul_u32_u24_e32 v50, 5, v102
	v_lshlrev_b32_e32 v50, 4, v50
	s_waitcnt vmcnt(16) lgkmcnt(4)
	v_mul_f64 v[46:47], v[72:73], v[10:11]
	v_mul_f64 v[10:11], v[70:71], v[10:11]
	global_load_dwordx4 v[146:149], v50, s[8:9] offset:1440
	global_load_dwordx4 v[150:153], v50, s[8:9] offset:1456
	ds_read_b128 v[0:3], v98 offset:11520
	s_waitcnt vmcnt(17) lgkmcnt(2)
	v_mul_f64 v[48:49], v[44:45], v[18:19]
	v_mul_f64 v[18:19], v[42:43], v[18:19]
	v_fma_f64 v[178:179], v[70:71], v[8:9], v[46:47]
	v_fma_f64 v[180:181], v[72:73], v[8:9], -v[10:11]
	ds_read_b128 v[8:11], v98 offset:13440
	global_load_dwordx4 v[154:157], v50, s[8:9] offset:1472
	global_load_dwordx4 v[158:161], v50, s[8:9] offset:1488
	;; [unrolled: 1-line block ×3, first 2 shown]
	v_fma_f64 v[182:183], v[42:43], v[16:17], v[48:49]
	s_waitcnt vmcnt(19) lgkmcnt(1)
	v_mul_f64 v[42:43], v[2:3], v[22:23]
	v_fma_f64 v[184:185], v[44:45], v[16:17], -v[18:19]
	v_mul_f64 v[22:23], v[0:1], v[22:23]
	s_waitcnt vmcnt(18)
	v_mul_f64 v[44:45], v[64:65], v[26:27]
	ds_read_b128 v[16:19], v98 offset:30720
	ds_read_b128 v[46:49], v98 offset:32640
	v_mul_f64 v[26:27], v[62:63], v[26:27]
	v_fma_f64 v[70:71], v[0:1], v[20:21], v[42:43]
	s_waitcnt vmcnt(17) lgkmcnt(1)
	v_mul_f64 v[42:43], v[18:19], v[30:31]
	v_fma_f64 v[72:73], v[2:3], v[20:21], -v[22:23]
	v_mul_f64 v[30:31], v[16:17], v[30:31]
	v_fma_f64 v[62:63], v[62:63], v[24:25], v[44:45]
	s_waitcnt vmcnt(16)
	v_mul_f64 v[44:45], v[14:15], v[34:35]
	ds_read_b128 v[0:3], v98 offset:49920
	ds_read_b128 v[20:23], v98 offset:51840
	v_mul_f64 v[34:35], v[12:13], v[34:35]
	v_fma_f64 v[78:79], v[16:17], v[28:29], v[42:43]
	v_fma_f64 v[64:65], v[64:65], v[24:25], -v[26:27]
	s_waitcnt vmcnt(15) lgkmcnt(1)
	v_mul_f64 v[16:17], v[2:3], v[40:41]
	v_fma_f64 v[74:75], v[18:19], v[28:29], -v[30:31]
	v_mul_f64 v[18:19], v[0:1], v[40:41]
	v_fma_f64 v[66:67], v[12:13], v[32:33], v[44:45]
	s_waitcnt vmcnt(14)
	v_mul_f64 v[28:29], v[10:11], v[54:55]
	v_fma_f64 v[68:69], v[14:15], v[32:33], -v[34:35]
	ds_read_b128 v[12:15], v98 offset:23040
	ds_read_b128 v[24:27], v98 offset:24960
	v_mul_f64 v[30:31], v[8:9], v[54:55]
	v_fma_f64 v[80:81], v[0:1], v[38:39], v[16:17]
	v_fma_f64 v[76:77], v[2:3], v[38:39], -v[18:19]
	s_waitcnt vmcnt(13) lgkmcnt(1)
	v_mul_f64 v[16:17], v[14:15], v[58:59]
	v_mul_f64 v[32:33], v[12:13], v[58:59]
	s_waitcnt vmcnt(12)
	v_mul_f64 v[18:19], v[46:47], v[112:113]
	ds_read_b128 v[0:3], v98 offset:42240
	v_mul_f64 v[34:35], v[48:49], v[112:113]
	v_fma_f64 v[50:51], v[8:9], v[52:53], v[28:29]
	v_fma_f64 v[52:53], v[10:11], v[52:53], -v[30:31]
	ds_read_b128 v[8:11], v98 offset:44160
	v_fma_f64 v[42:43], v[12:13], v[56:57], v[16:17]
	s_waitcnt vmcnt(11) lgkmcnt(1)
	v_mul_f64 v[16:17], v[2:3], v[116:117]
	v_fma_f64 v[44:45], v[14:15], v[56:57], -v[32:33]
	v_fma_f64 v[54:55], v[48:49], v[110:111], -v[18:19]
	ds_read_b128 v[12:15], v98 offset:15360
	v_mul_f64 v[18:19], v[0:1], v[116:117]
	v_fma_f64 v[56:57], v[46:47], v[110:111], v[34:35]
	ds_read_b128 v[110:113], v98 offset:17280
	s_waitcnt vmcnt(10)
	v_mul_f64 v[28:29], v[22:23], v[120:121]
	v_mul_f64 v[30:31], v[20:21], v[120:121]
	s_waitcnt vmcnt(9) lgkmcnt(1)
	v_mul_f64 v[32:33], v[14:15], v[124:125]
	v_fma_f64 v[46:47], v[0:1], v[114:115], v[16:17]
	v_mul_f64 v[16:17], v[12:13], v[124:125]
	v_fma_f64 v[48:49], v[2:3], v[114:115], -v[18:19]
	ds_read_b128 v[0:3], v98 offset:34560
	s_waitcnt vmcnt(8)
	v_mul_f64 v[38:39], v[24:25], v[128:129]
	v_fma_f64 v[60:61], v[20:21], v[118:119], v[28:29]
	v_fma_f64 v[58:59], v[22:23], v[118:119], -v[30:31]
	v_fma_f64 v[28:29], v[12:13], v[122:123], v[32:33]
	v_mul_f64 v[34:35], v[26:27], v[128:129]
	v_fma_f64 v[30:31], v[14:15], v[122:123], -v[16:17]
	ds_read_b128 v[12:15], v98 offset:36480
	s_waitcnt vmcnt(7) lgkmcnt(1)
	v_mul_f64 v[16:17], v[2:3], v[136:137]
	v_fma_f64 v[20:21], v[26:27], v[126:127], -v[38:39]
	v_mul_f64 v[22:23], v[0:1], v[136:137]
	s_waitcnt vmcnt(6)
	v_mul_f64 v[26:27], v[8:9], v[140:141]
	ds_read_b128 v[114:117], v98 offset:53760
	ds_read_b128 v[118:121], v98 offset:55680
	v_fma_f64 v[18:19], v[24:25], v[126:127], v[34:35]
	v_mul_f64 v[24:25], v[10:11], v[140:141]
	v_fma_f64 v[40:41], v[0:1], v[134:135], v[16:17]
	s_waitcnt vmcnt(4)
	v_mul_f64 v[0:1], v[110:111], v[148:149]
	s_waitcnt lgkmcnt(1)
	v_mul_f64 v[34:35], v[116:117], v[144:145]
	v_mul_f64 v[122:123], v[114:115], v[144:145]
	;; [unrolled: 1-line block ×3, first 2 shown]
	v_fma_f64 v[32:33], v[2:3], v[134:135], -v[22:23]
	v_fma_f64 v[26:27], v[10:11], v[138:139], -v[26:27]
	s_waitcnt vmcnt(3)
	v_mul_f64 v[2:3], v[6:7], v[152:153]
	v_fma_f64 v[24:25], v[8:9], v[138:139], v[24:25]
	v_fma_f64 v[10:11], v[112:113], v[146:147], -v[0:1]
	s_waitcnt vmcnt(1)
	v_mul_f64 v[112:113], v[132:133], v[160:161]
	v_fma_f64 v[38:39], v[114:115], v[142:143], v[34:35]
	v_fma_f64 v[34:35], v[116:117], v[142:143], -v[122:123]
	v_fma_f64 v[8:9], v[110:111], v[146:147], v[124:125]
	v_mul_f64 v[16:17], v[4:5], v[152:153]
	v_mul_f64 v[22:23], v[14:15], v[156:157]
	;; [unrolled: 1-line block ×3, first 2 shown]
	s_waitcnt vmcnt(0) lgkmcnt(0)
	v_mul_f64 v[116:117], v[120:121], v[164:165]
	v_fma_f64 v[0:1], v[4:5], v[150:151], v[2:3]
	v_fma_f64 v[4:5], v[130:131], v[158:159], v[112:113]
	v_add_f64 v[112:113], v[176:177], v[184:185]
	v_mul_f64 v[122:123], v[118:119], v[164:165]
	v_fma_f64 v[2:3], v[6:7], v[150:151], -v[16:17]
	v_fma_f64 v[16:17], v[12:13], v[154:155], v[22:23]
	v_fma_f64 v[12:13], v[14:15], v[154:155], -v[110:111]
	v_fma_f64 v[14:15], v[118:119], v[162:163], v[116:117]
	v_add_f64 v[118:119], v[174:175], v[182:183]
	v_add_f64 v[124:125], v[174:175], -v[182:183]
	v_fma_f64 v[112:113], v[112:113], -0.5, v[168:169]
	v_mul_f64 v[114:115], v[130:131], v[160:161]
	v_add_f64 v[116:117], v[170:171], v[178:179]
	v_add_f64 v[130:131], v[176:177], -v[184:185]
	v_add_f64 v[110:111], v[106:107], v[170:171]
	v_fma_f64 v[22:23], v[120:121], v[162:163], -v[122:123]
	v_fma_f64 v[118:119], v[118:119], -0.5, v[166:167]
	v_add_f64 v[120:121], v[172:173], v[180:181]
	v_fma_f64 v[128:129], v[124:125], s[4:5], v[112:113]
	v_fma_f64 v[112:113], v[124:125], s[6:7], v[112:113]
	v_fma_f64 v[6:7], v[132:133], v[158:159], -v[114:115]
	v_add_f64 v[114:115], v[166:167], v[174:175]
	v_add_f64 v[122:123], v[108:109], v[172:173]
	;; [unrolled: 1-line block ×3, first 2 shown]
	v_fma_f64 v[116:117], v[116:117], -0.5, v[106:107]
	v_fma_f64 v[132:133], v[130:131], s[6:7], v[118:119]
	v_mul_f64 v[124:125], v[128:129], s[6:7]
	v_mul_f64 v[128:129], v[128:129], 0.5
	v_add_f64 v[134:135], v[172:173], -v[180:181]
	v_fma_f64 v[118:119], v[130:131], s[4:5], v[118:119]
	v_mul_f64 v[130:131], v[112:113], s[6:7]
	v_add_f64 v[110:111], v[110:111], v[178:179]
	v_add_f64 v[114:115], v[114:115], v[182:183]
	v_fma_f64 v[120:121], v[120:121], -0.5, v[108:109]
	v_add_f64 v[122:123], v[122:123], v[180:181]
	v_add_f64 v[126:127], v[126:127], v[184:185]
	v_add_f64 v[136:137], v[170:171], -v[178:179]
	v_mul_f64 v[112:113], v[112:113], -0.5
	v_fma_f64 v[124:125], v[132:133], 0.5, v[124:125]
	v_fma_f64 v[128:129], v[132:133], s[4:5], v[128:129]
	v_fma_f64 v[132:133], v[134:135], s[6:7], v[116:117]
	;; [unrolled: 1-line block ×3, first 2 shown]
	v_fma_f64 v[130:131], v[118:119], -0.5, v[130:131]
	v_add_f64 v[106:107], v[110:111], v[114:115]
	v_add_f64 v[108:109], v[122:123], v[126:127]
	v_fma_f64 v[138:139], v[136:137], s[4:5], v[120:121]
	v_fma_f64 v[136:137], v[136:137], s[6:7], v[120:121]
	;; [unrolled: 1-line block ×3, first 2 shown]
	v_add_f64 v[112:113], v[122:123], -v[126:127]
	v_add_f64 v[110:111], v[110:111], -v[114:115]
	v_add_f64 v[122:123], v[134:135], v[130:131]
	v_add_f64 v[126:127], v[134:135], -v[130:131]
	v_mov_b32_e32 v130, 0x2580
	v_cndmask_b32_e32 v130, 0, v130, vcc
	v_add3_u32 v146, 0, v130, v87
	v_add_f64 v[114:115], v[132:133], v[124:125]
	v_add_f64 v[116:117], v[138:139], v[128:129]
	v_add_f64 v[118:119], v[132:133], -v[124:125]
	v_add_f64 v[120:121], v[138:139], -v[128:129]
	v_add_f64 v[124:125], v[136:137], v[140:141]
	v_add_f64 v[128:129], v[136:137], -v[140:141]
	v_lshl_add_u32 v87, v94, 4, 0
	ds_read_b128 v[130:133], v86
	ds_read_b128 v[134:137], v85
	ds_read_b128 v[138:141], v84
	ds_read_b128 v[142:145], v87
	s_waitcnt lgkmcnt(0)
	s_barrier
	ds_write_b128 v146, v[106:109]
	v_add_f64 v[106:107], v[74:75], v[76:77]
	ds_write_b128 v146, v[114:117] offset:1600
	ds_write_b128 v146, v[122:125] offset:3200
	;; [unrolled: 1-line block ×5, first 2 shown]
	v_add_f64 v[110:111], v[70:71], v[78:79]
	v_add_f64 v[112:113], v[78:79], v[80:81]
	v_add_f64 v[78:79], v[78:79], -v[80:81]
	v_add_f64 v[108:109], v[130:131], v[62:63]
	v_add_f64 v[114:115], v[62:63], v[66:67]
	;; [unrolled: 1-line block ×3, first 2 shown]
	v_fma_f64 v[106:107], v[106:107], -0.5, v[72:73]
	v_add_f64 v[118:119], v[132:133], v[64:65]
	v_add_f64 v[72:73], v[72:73], v[74:75]
	;; [unrolled: 1-line block ×3, first 2 shown]
	v_fma_f64 v[110:111], v[112:113], -0.5, v[70:71]
	v_add_f64 v[74:75], v[74:75], -v[76:77]
	v_add_f64 v[108:109], v[108:109], v[66:67]
	v_fma_f64 v[114:115], v[114:115], -0.5, v[130:131]
	v_fma_f64 v[112:113], v[78:79], s[4:5], v[106:107]
	v_fma_f64 v[78:79], v[78:79], s[6:7], v[106:107]
	v_fma_f64 v[116:117], v[116:117], -0.5, v[132:133]
	v_add_f64 v[118:119], v[118:119], v[68:69]
	v_add_f64 v[76:77], v[72:73], v[76:77]
	v_fma_f64 v[120:121], v[74:75], s[6:7], v[110:111]
	v_add_f64 v[64:65], v[64:65], -v[68:69]
	v_add_f64 v[62:63], v[62:63], -v[66:67]
	v_mul_f64 v[106:107], v[112:113], s[6:7]
	v_mul_f64 v[112:113], v[112:113], 0.5
	v_fma_f64 v[66:67], v[74:75], s[4:5], v[110:111]
	v_mul_f64 v[68:69], v[78:79], s[6:7]
	v_mul_f64 v[74:75], v[78:79], -0.5
	v_add_f64 v[70:71], v[108:109], v[80:81]
	v_add_f64 v[72:73], v[118:119], v[76:77]
	v_fma_f64 v[110:111], v[64:65], s[6:7], v[114:115]
	v_fma_f64 v[78:79], v[120:121], 0.5, v[106:107]
	v_fma_f64 v[106:107], v[120:121], s[4:5], v[112:113]
	v_fma_f64 v[112:113], v[62:63], s[4:5], v[116:117]
	;; [unrolled: 1-line block ×4, first 2 shown]
	v_fma_f64 v[120:121], v[66:67], -0.5, v[68:69]
	v_fma_f64 v[122:123], v[66:67], s[4:5], v[74:75]
	ds_write_b128 v97, v[70:73]
	v_add_f64 v[66:67], v[110:111], v[78:79]
	v_add_f64 v[70:71], v[54:55], v[58:59]
	;; [unrolled: 1-line block ×3, first 2 shown]
	v_add_f64 v[62:63], v[108:109], -v[80:81]
	v_add_f64 v[74:75], v[110:111], -v[78:79]
	v_add_f64 v[78:79], v[114:115], v[120:121]
	v_add_f64 v[80:81], v[116:117], v[122:123]
	v_add_f64 v[64:65], v[118:119], -v[76:77]
	v_add_f64 v[76:77], v[112:113], -v[106:107]
	;; [unrolled: 1-line block ×4, first 2 shown]
	ds_write_b128 v97, v[66:69] offset:1600
	ds_write_b128 v97, v[78:81] offset:3200
	;; [unrolled: 1-line block ×5, first 2 shown]
	v_add_f64 v[64:65], v[50:51], v[56:57]
	v_fma_f64 v[66:67], v[70:71], -0.5, v[52:53]
	v_add_f64 v[68:69], v[56:57], v[60:61]
	v_add_f64 v[56:57], v[56:57], -v[60:61]
	v_add_f64 v[70:71], v[42:43], v[46:47]
	v_add_f64 v[52:53], v[52:53], v[54:55]
	v_add_f64 v[54:55], v[54:55], -v[58:59]
	v_add_f64 v[62:63], v[134:135], v[42:43]
	v_add_f64 v[60:61], v[64:65], v[60:61]
	;; [unrolled: 1-line block ×3, first 2 shown]
	v_fma_f64 v[64:65], v[68:69], -0.5, v[50:51]
	v_fma_f64 v[68:69], v[56:57], s[4:5], v[66:67]
	v_add_f64 v[74:75], v[136:137], v[44:45]
	v_fma_f64 v[56:57], v[56:57], s[6:7], v[66:67]
	v_fma_f64 v[70:71], v[70:71], -0.5, v[134:135]
	v_add_f64 v[44:45], v[44:45], -v[48:49]
	v_add_f64 v[62:63], v[62:63], v[46:47]
	v_fma_f64 v[72:73], v[72:73], -0.5, v[136:137]
	v_fma_f64 v[76:77], v[54:55], s[6:7], v[64:65]
	v_mul_f64 v[66:67], v[68:69], s[6:7]
	v_add_f64 v[74:75], v[74:75], v[48:49]
	v_add_f64 v[58:59], v[52:53], v[58:59]
	v_mul_f64 v[68:69], v[68:69], 0.5
	v_add_f64 v[42:43], v[42:43], -v[46:47]
	v_fma_f64 v[46:47], v[54:55], s[4:5], v[64:65]
	v_mul_f64 v[48:49], v[56:57], s[6:7]
	v_mul_f64 v[54:55], v[56:57], -0.5
	v_fma_f64 v[56:57], v[76:77], 0.5, v[66:67]
	v_fma_f64 v[66:67], v[44:45], s[6:7], v[70:71]
	v_add_f64 v[50:51], v[62:63], v[60:61]
	v_add_f64 v[52:53], v[74:75], v[58:59]
	v_fma_f64 v[64:65], v[76:77], s[4:5], v[68:69]
	v_fma_f64 v[68:69], v[42:43], s[4:5], v[72:73]
	;; [unrolled: 1-line block ×4, first 2 shown]
	v_fma_f64 v[76:77], v[46:47], -0.5, v[48:49]
	v_fma_f64 v[78:79], v[46:47], s[4:5], v[54:55]
	v_add_f64 v[46:47], v[66:67], v[56:57]
	v_add_f64 v[54:55], v[66:67], -v[56:57]
	v_lshlrev_b32_e32 v66, 4, v105
	v_add3_u32 v36, 0, v36, v66
	v_add_f64 v[48:49], v[68:69], v[64:65]
	ds_write_b128 v36, v[50:53]
	v_add_f64 v[50:51], v[32:33], v[34:35]
	v_add_f64 v[42:43], v[62:63], -v[60:61]
	v_add_f64 v[44:45], v[74:75], -v[58:59]
	v_add_f64 v[58:59], v[70:71], v[76:77]
	v_add_f64 v[60:61], v[72:73], v[78:79]
	v_add_f64 v[56:57], v[68:69], -v[64:65]
	v_add_f64 v[62:63], v[70:71], -v[76:77]
	;; [unrolled: 1-line block ×3, first 2 shown]
	ds_write_b128 v36, v[46:49] offset:1600
	ds_write_b128 v36, v[58:61] offset:3200
	;; [unrolled: 1-line block ×5, first 2 shown]
	v_add_f64 v[44:45], v[28:29], v[40:41]
	v_fma_f64 v[46:47], v[50:51], -0.5, v[30:31]
	v_add_f64 v[48:49], v[40:41], v[38:39]
	v_add_f64 v[40:41], v[40:41], -v[38:39]
	v_add_f64 v[50:51], v[18:19], v[24:25]
	v_add_f64 v[30:31], v[30:31], v[32:33]
	v_add_f64 v[32:33], v[32:33], -v[34:35]
	v_add_f64 v[42:43], v[138:139], v[18:19]
	v_add_f64 v[38:39], v[44:45], v[38:39]
	;; [unrolled: 1-line block ×3, first 2 shown]
	v_fma_f64 v[44:45], v[48:49], -0.5, v[28:29]
	v_fma_f64 v[48:49], v[40:41], s[4:5], v[46:47]
	v_add_f64 v[54:55], v[140:141], v[20:21]
	v_fma_f64 v[40:41], v[40:41], s[6:7], v[46:47]
	v_fma_f64 v[50:51], v[50:51], -0.5, v[138:139]
	v_add_f64 v[20:21], v[20:21], -v[26:27]
	v_add_f64 v[42:43], v[42:43], v[24:25]
	v_fma_f64 v[52:53], v[52:53], -0.5, v[140:141]
	v_fma_f64 v[56:57], v[32:33], s[6:7], v[44:45]
	v_mul_f64 v[46:47], v[48:49], s[6:7]
	v_add_f64 v[54:55], v[54:55], v[26:27]
	v_add_f64 v[34:35], v[30:31], v[34:35]
	v_mul_f64 v[48:49], v[48:49], 0.5
	v_add_f64 v[18:19], v[18:19], -v[24:25]
	v_fma_f64 v[24:25], v[32:33], s[4:5], v[44:45]
	v_mul_f64 v[26:27], v[40:41], s[6:7]
	v_mul_f64 v[32:33], v[40:41], -0.5
	v_fma_f64 v[40:41], v[56:57], 0.5, v[46:47]
	v_fma_f64 v[46:47], v[20:21], s[6:7], v[50:51]
	v_add_f64 v[28:29], v[42:43], v[38:39]
	v_add_f64 v[30:31], v[54:55], v[34:35]
	v_fma_f64 v[44:45], v[56:57], s[4:5], v[48:49]
	v_fma_f64 v[48:49], v[18:19], s[4:5], v[52:53]
	;; [unrolled: 1-line block ×4, first 2 shown]
	v_fma_f64 v[56:57], v[24:25], -0.5, v[26:27]
	v_fma_f64 v[58:59], v[24:25], s[4:5], v[32:33]
	v_add_f64 v[24:25], v[46:47], v[40:41]
	v_add_f64 v[32:33], v[46:47], -v[40:41]
	v_mul_u32_u24_e32 v36, 0x2580, v103
	v_lshlrev_b32_e32 v46, 4, v104
	v_add3_u32 v36, 0, v36, v46
	v_add_f64 v[26:27], v[48:49], v[44:45]
	ds_write_b128 v36, v[28:31]
	v_add_f64 v[28:29], v[12:13], v[22:23]
	v_add_f64 v[18:19], v[42:43], -v[38:39]
	v_add_f64 v[38:39], v[50:51], v[56:57]
	v_add_f64 v[40:41], v[52:53], v[58:59]
	v_add_f64 v[20:21], v[54:55], -v[34:35]
	v_add_f64 v[34:35], v[48:49], -v[44:45]
	;; [unrolled: 1-line block ×4, first 2 shown]
	ds_write_b128 v36, v[24:27] offset:1600
	ds_write_b128 v36, v[38:41] offset:3200
	;; [unrolled: 1-line block ×5, first 2 shown]
	v_add_f64 v[20:21], v[8:9], v[16:17]
	v_fma_f64 v[24:25], v[28:29], -0.5, v[10:11]
	v_add_f64 v[26:27], v[16:17], v[14:15]
	v_add_f64 v[16:17], v[16:17], -v[14:15]
	v_add_f64 v[28:29], v[0:1], v[4:5]
	v_add_f64 v[30:31], v[2:3], v[6:7]
	;; [unrolled: 1-line block ×3, first 2 shown]
	v_add_f64 v[12:13], v[12:13], -v[22:23]
	v_add_f64 v[14:15], v[20:21], v[14:15]
	v_add_f64 v[18:19], v[142:143], v[0:1]
	v_fma_f64 v[20:21], v[26:27], -0.5, v[8:9]
	v_fma_f64 v[26:27], v[16:17], s[4:5], v[24:25]
	v_add_f64 v[32:33], v[144:145], v[2:3]
	v_fma_f64 v[16:17], v[16:17], s[6:7], v[24:25]
	v_fma_f64 v[28:29], v[28:29], -0.5, v[142:143]
	v_fma_f64 v[30:31], v[30:31], -0.5, v[144:145]
	v_add_f64 v[2:3], v[2:3], -v[6:7]
	v_add_f64 v[0:1], v[0:1], -v[4:5]
	v_fma_f64 v[34:35], v[12:13], s[6:7], v[20:21]
	v_mul_f64 v[24:25], v[26:27], s[6:7]
	v_mul_f64 v[26:27], v[26:27], 0.5
	v_add_f64 v[18:19], v[18:19], v[4:5]
	v_add_f64 v[32:33], v[32:33], v[6:7]
	v_fma_f64 v[4:5], v[12:13], s[4:5], v[20:21]
	v_mul_f64 v[6:7], v[16:17], s[6:7]
	v_mul_f64 v[12:13], v[16:17], -0.5
	v_add_f64 v[22:23], v[10:11], v[22:23]
	v_fma_f64 v[16:17], v[34:35], 0.5, v[24:25]
	v_fma_f64 v[20:21], v[34:35], s[4:5], v[26:27]
	v_fma_f64 v[24:25], v[2:3], s[6:7], v[28:29]
	;; [unrolled: 1-line block ×5, first 2 shown]
	v_fma_f64 v[34:35], v[4:5], -0.5, v[6:7]
	v_fma_f64 v[38:39], v[4:5], s[4:5], v[12:13]
	v_add_f64 v[8:9], v[18:19], v[14:15]
	v_add_f64 v[10:11], v[32:33], v[22:23]
	;; [unrolled: 1-line block ×4, first 2 shown]
	v_add_f64 v[0:1], v[18:19], -v[14:15]
	v_add_f64 v[12:13], v[24:25], -v[16:17]
	v_add_f64 v[16:17], v[28:29], v[34:35]
	v_add_f64 v[18:19], v[30:31], v[38:39]
	v_add_f64 v[2:3], v[32:33], -v[22:23]
	v_add_f64 v[14:15], v[26:27], -v[20:21]
	;; [unrolled: 1-line block ×4, first 2 shown]
	v_mul_u32_u24_e32 v24, 0x2580, v101
	v_lshlrev_b32_e32 v25, 4, v102
	v_add3_u32 v24, 0, v24, v25
	ds_write_b128 v24, v[8:11]
	ds_write_b128 v24, v[4:7] offset:1600
	ds_write_b128 v24, v[16:19] offset:3200
	;; [unrolled: 1-line block ×5, first 2 shown]
	v_mul_u32_u24_e32 v0, 5, v88
	v_lshlrev_b32_e32 v0, 4, v0
	v_add_co_u32_e32 v4, vcc, s8, v0
	v_addc_co_u32_e32 v5, vcc, 0, v93, vcc
	v_add_co_u32_e32 v20, vcc, s10, v4
	v_addc_co_u32_e32 v21, vcc, 0, v5, vcc
	s_waitcnt lgkmcnt(0)
	s_barrier
	global_load_dwordx4 v[0:3], v[20:21], off offset:1248
	v_add_co_u32_e32 v22, vcc, s11, v4
	v_addc_co_u32_e32 v23, vcc, 0, v5, vcc
	global_load_dwordx4 v[12:15], v[22:23], off offset:16
	global_load_dwordx4 v[8:11], v[22:23], off offset:32
	;; [unrolled: 1-line block ×4, first 2 shown]
	v_mul_i32_i24_e32 v36, 5, v92
	v_lshlrev_b64 v[20:21], 4, v[36:37]
	ds_read_b128 v[38:41], v98 offset:9600
	v_add_co_u32_e32 v20, vcc, s8, v20
	v_addc_co_u32_e32 v21, vcc, v93, v21, vcc
	v_add_co_u32_e32 v46, vcc, s10, v20
	v_addc_co_u32_e32 v47, vcc, 0, v21, vcc
	global_load_dwordx4 v[24:27], v[46:47], off offset:1248
	v_add_co_u32_e32 v48, vcc, s11, v20
	v_addc_co_u32_e32 v49, vcc, 0, v21, vcc
	global_load_dwordx4 v[20:23], v[48:49], off offset:16
	global_load_dwordx4 v[28:31], v[46:47], off offset:1312
	;; [unrolled: 1-line block ×4, first 2 shown]
	v_mul_i32_i24_e32 v36, 5, v96
	v_lshlrev_b64 v[46:47], 4, v[36:37]
	ds_read_b128 v[66:69], v98
	v_add_co_u32_e32 v36, vcc, s8, v46
	v_addc_co_u32_e32 v46, vcc, v93, v47, vcc
	v_add_co_u32_e32 v78, vcc, s10, v36
	v_addc_co_u32_e32 v79, vcc, 0, v46, vcc
	v_add_co_u32_e32 v74, vcc, s11, v36
	v_addc_co_u32_e32 v75, vcc, 0, v46, vcc
	ds_read_b128 v[46:49], v98 offset:19200
	global_load_dwordx4 v[50:53], v[74:75], off offset:16
	global_load_dwordx4 v[58:61], v[74:75], off offset:32
	v_mul_i32_i24_e32 v36, 5, v95
	s_waitcnt vmcnt(11) lgkmcnt(2)
	v_mul_f64 v[54:55], v[40:41], v[2:3]
	v_mul_f64 v[2:3], v[38:39], v[2:3]
	s_waitcnt vmcnt(10) lgkmcnt(0)
	v_mul_f64 v[80:81], v[48:49], v[14:15]
	v_mul_f64 v[14:15], v[46:47], v[14:15]
	v_fma_f64 v[143:144], v[38:39], v[0:1], v[54:55]
	ds_read_b128 v[54:57], v98 offset:21120
	ds_read_b128 v[62:65], v98 offset:28800
	v_fma_f64 v[145:146], v[40:41], v[0:1], -v[2:3]
	global_load_dwordx4 v[38:41], v[78:79], off offset:1248
	v_fma_f64 v[147:148], v[46:47], v[12:13], v[80:81]
	global_load_dwordx4 v[74:77], v[74:75], off offset:48
	s_waitcnt vmcnt(11) lgkmcnt(0)
	v_mul_f64 v[107:108], v[64:65], v[10:11]
	v_lshlrev_b64 v[46:47], 4, v[36:37]
	global_load_dwordx4 v[78:81], v[78:79], off offset:1312
	v_add_co_u32_e32 v36, vcc, s8, v46
	v_addc_co_u32_e32 v46, vcc, v93, v47, vcc
	v_mul_f64 v[139:140], v[62:63], v[10:11]
	v_fma_f64 v[151:152], v[62:63], v[8:9], v[107:108]
	v_add_co_u32_e32 v62, vcc, s10, v36
	v_addc_co_u32_e32 v63, vcc, 0, v46, vcc
	ds_read_b128 v[0:3], v98 offset:26880
	ds_read_b128 v[103:106], v98 offset:48000
	ds_read_b128 v[70:73], v98 offset:38400
	ds_read_b128 v[99:102], v98 offset:40320
	v_fma_f64 v[149:150], v[48:49], v[12:13], -v[14:15]
	ds_read_b128 v[10:13], v98 offset:11520
	ds_read_b128 v[107:110], v98 offset:46080
	global_load_dwordx4 v[111:114], v[62:63], off offset:1248
	v_add_co_u32_e32 v123, vcc, s11, v36
	v_addc_co_u32_e32 v124, vcc, 0, v46, vcc
	global_load_dwordx4 v[115:118], v[123:124], off offset:16
	v_mul_i32_i24_e32 v36, 5, v94
	ds_read_b128 v[46:49], v98 offset:13440
	global_load_dwordx4 v[119:122], v[123:124], off offset:32
	s_nop 0
	global_load_dwordx4 v[123:126], v[123:124], off offset:48
	s_nop 0
	global_load_dwordx4 v[127:130], v[62:63], off offset:1312
	v_lshlrev_b64 v[62:63], 4, v[36:37]
	s_waitcnt vmcnt(16) lgkmcnt(4)
	v_mul_f64 v[141:142], v[72:73], v[6:7]
	v_add_co_u32_e32 v36, vcc, s8, v62
	v_addc_co_u32_e32 v93, vcc, v93, v63, vcc
	v_add_co_u32_e32 v62, vcc, s10, v36
	v_addc_co_u32_e32 v63, vcc, 0, v93, vcc
	;; [unrolled: 2-line block ×3, first 2 shown]
	v_mul_f64 v[6:7], v[70:71], v[6:7]
	s_waitcnt vmcnt(15)
	v_mul_f64 v[14:15], v[105:106], v[18:19]
	v_mul_f64 v[18:19], v[103:104], v[18:19]
	global_load_dwordx4 v[135:138], v[155:156], off offset:16
	global_load_dwordx4 v[131:134], v[62:63], off offset:1248
	v_fma_f64 v[157:158], v[64:65], v[8:9], -v[139:140]
	v_fma_f64 v[159:160], v[70:71], v[4:5], v[141:142]
	global_load_dwordx4 v[139:142], v[62:63], off offset:1312
	v_fma_f64 v[161:162], v[72:73], v[4:5], -v[6:7]
	v_fma_f64 v[163:164], v[103:104], v[16:17], v[14:15]
	v_fma_f64 v[165:166], v[105:106], v[16:17], -v[18:19]
	global_load_dwordx4 v[70:73], v[155:156], off offset:32
	global_load_dwordx4 v[103:106], v[155:156], off offset:48
	s_waitcnt vmcnt(19) lgkmcnt(2)
	v_mul_f64 v[153:154], v[12:13], v[26:27]
	v_mul_f64 v[8:9], v[10:11], v[26:27]
	ds_read_b128 v[4:7], v98 offset:30720
	s_waitcnt vmcnt(18)
	v_mul_f64 v[26:27], v[56:57], v[22:23]
	v_mul_f64 v[16:17], v[54:55], v[22:23]
	v_cmp_ne_u32_e32 vcc, 0, v88
	v_fma_f64 v[153:154], v[10:11], v[24:25], v[153:154]
	v_fma_f64 v[167:168], v[12:13], v[24:25], -v[8:9]
	ds_read_b128 v[8:11], v98 offset:32640
	s_waitcnt vmcnt(16) lgkmcnt(1)
	v_mul_f64 v[22:23], v[6:7], v[34:35]
	v_mul_f64 v[24:25], v[4:5], v[34:35]
	ds_read_b128 v[12:15], v98 offset:49920
	v_fma_f64 v[155:156], v[54:55], v[20:21], v[26:27]
	s_waitcnt vmcnt(15)
	v_mul_f64 v[26:27], v[101:102], v[44:45]
	v_fma_f64 v[169:170], v[56:57], v[20:21], -v[16:17]
	ds_read_b128 v[16:19], v98 offset:51840
	v_mul_f64 v[20:21], v[99:100], v[44:45]
	s_waitcnt lgkmcnt(1)
	v_mul_f64 v[34:35], v[14:15], v[30:31]
	v_mul_f64 v[30:31], v[12:13], v[30:31]
	v_fma_f64 v[171:172], v[4:5], v[32:33], v[22:23]
	v_fma_f64 v[173:174], v[6:7], v[32:33], -v[24:25]
	ds_read_b128 v[4:7], v98 offset:23040
	v_fma_f64 v[175:176], v[99:100], v[42:43], v[26:27]
	s_waitcnt vmcnt(12)
	v_mul_f64 v[24:25], v[48:49], v[40:41]
	v_fma_f64 v[177:178], v[101:102], v[42:43], -v[20:21]
	ds_read_b128 v[20:23], v98 offset:24960
	v_mul_f64 v[26:27], v[46:47], v[40:41]
	s_waitcnt lgkmcnt(1)
	v_mul_f64 v[32:33], v[6:7], v[52:53]
	v_fma_f64 v[179:180], v[12:13], v[28:29], v[34:35]
	v_fma_f64 v[181:182], v[14:15], v[28:29], -v[30:31]
	v_mul_f64 v[28:29], v[4:5], v[52:53]
	ds_read_b128 v[12:15], v98 offset:42240
	v_fma_f64 v[56:57], v[46:47], v[38:39], v[24:25]
	v_mul_f64 v[24:25], v[10:11], v[60:61]
	v_mul_f64 v[30:31], v[8:9], v[60:61]
	v_fma_f64 v[54:55], v[48:49], v[38:39], -v[26:27]
	v_fma_f64 v[46:47], v[4:5], v[50:51], v[32:33]
	ds_read_b128 v[32:35], v98 offset:44160
	s_waitcnt vmcnt(11) lgkmcnt(1)
	v_mul_f64 v[26:27], v[14:15], v[76:77]
	v_mul_f64 v[38:39], v[12:13], v[76:77]
	v_fma_f64 v[48:49], v[6:7], v[50:51], -v[28:29]
	ds_read_b128 v[4:7], v98 offset:15360
	s_waitcnt vmcnt(10)
	v_mul_f64 v[28:29], v[16:17], v[80:81]
	v_fma_f64 v[62:63], v[8:9], v[58:59], v[24:25]
	v_fma_f64 v[60:61], v[10:11], v[58:59], -v[30:31]
	ds_read_b128 v[8:11], v98 offset:17280
	v_mul_f64 v[24:25], v[18:19], v[80:81]
	v_fma_f64 v[50:51], v[12:13], v[74:75], v[26:27]
	v_fma_f64 v[52:53], v[14:15], v[74:75], -v[38:39]
	s_waitcnt vmcnt(9) lgkmcnt(1)
	v_mul_f64 v[12:13], v[6:7], v[113:114]
	ds_read_b128 v[38:41], v98 offset:34560
	ds_read_b128 v[74:77], v98 offset:36480
	v_mul_f64 v[14:15], v[4:5], v[113:114]
	s_waitcnt vmcnt(8)
	v_mul_f64 v[26:27], v[22:23], v[117:118]
	v_mul_f64 v[30:31], v[20:21], v[117:118]
	s_waitcnt vmcnt(7) lgkmcnt(1)
	v_mul_f64 v[42:43], v[40:41], v[121:122]
	v_fma_f64 v[58:59], v[18:19], v[78:79], -v[28:29]
	s_waitcnt vmcnt(6)
	v_mul_f64 v[18:19], v[32:33], v[125:126]
	v_fma_f64 v[64:65], v[16:17], v[78:79], v[24:25]
	v_fma_f64 v[24:25], v[4:5], v[111:112], v[12:13]
	v_fma_f64 v[28:29], v[6:7], v[111:112], -v[14:15]
	ds_read_b128 v[4:7], v98 offset:53760
	ds_read_b128 v[78:81], v98 offset:55680
	v_mul_f64 v[16:17], v[38:39], v[121:122]
	v_fma_f64 v[12:13], v[20:21], v[115:116], v[26:27]
	v_fma_f64 v[14:15], v[22:23], v[115:116], -v[30:31]
	v_fma_f64 v[30:31], v[38:39], v[119:120], v[42:43]
	s_waitcnt vmcnt(5) lgkmcnt(1)
	v_mul_f64 v[22:23], v[6:7], v[129:130]
	v_mul_f64 v[38:39], v[4:5], v[129:130]
	s_waitcnt vmcnt(4)
	v_mul_f64 v[99:100], v[2:3], v[137:138]
	v_fma_f64 v[20:21], v[34:35], v[123:124], -v[18:19]
	v_mul_f64 v[18:19], v[0:1], v[137:138]
	v_fma_f64 v[26:27], v[40:41], v[119:120], -v[16:17]
	v_mul_f64 v[16:17], v[34:35], v[125:126]
	s_waitcnt vmcnt(3)
	v_mul_f64 v[44:45], v[8:9], v[133:134]
	v_fma_f64 v[40:41], v[4:5], v[127:128], v[22:23]
	v_fma_f64 v[34:35], v[6:7], v[127:128], -v[38:39]
	v_fma_f64 v[4:5], v[0:1], v[135:136], v[99:100]
	s_waitcnt vmcnt(1)
	v_mul_f64 v[0:1], v[76:77], v[72:73]
	v_mul_f64 v[22:23], v[74:75], v[72:73]
	v_fma_f64 v[6:7], v[2:3], v[135:136], -v[18:19]
	s_waitcnt vmcnt(0)
	v_mul_f64 v[2:3], v[109:110], v[105:106]
	v_mul_f64 v[38:39], v[107:108], v[105:106]
	s_waitcnt lgkmcnt(0)
	v_mul_f64 v[72:73], v[78:79], v[141:142]
	v_add_f64 v[99:100], v[157:158], v[165:166]
	v_mul_f64 v[42:43], v[10:11], v[133:134]
	v_fma_f64 v[16:17], v[32:33], v[123:124], v[16:17]
	v_fma_f64 v[10:11], v[10:11], v[131:132], -v[44:45]
	v_fma_f64 v[44:45], v[74:75], v[70:71], v[0:1]
	v_fma_f64 v[32:33], v[76:77], v[70:71], -v[22:23]
	;; [unrolled: 2-line block ×3, first 2 shown]
	v_fma_f64 v[38:39], v[80:81], v[139:140], -v[72:73]
	v_fma_f64 v[2:3], v[99:100], -0.5, v[145:146]
	v_add_f64 v[70:71], v[151:152], -v[163:164]
	v_add_f64 v[72:73], v[151:152], v[163:164]
	v_fma_f64 v[8:9], v[8:9], v[131:132], v[42:43]
	v_mul_f64 v[42:43], v[80:81], v[141:142]
	v_add_f64 v[0:1], v[147:148], v[159:160]
	v_add_f64 v[101:102], v[157:158], -v[165:166]
	v_add_f64 v[74:75], v[143:144], v[151:152]
	v_add_f64 v[80:81], v[145:146], v[157:158]
	v_fma_f64 v[99:100], v[70:71], s[4:5], v[2:3]
	v_fma_f64 v[72:73], v[72:73], -0.5, v[143:144]
	v_fma_f64 v[2:3], v[70:71], s[6:7], v[2:3]
	v_fma_f64 v[42:43], v[78:79], v[139:140], v[42:43]
	v_fma_f64 v[0:1], v[0:1], -0.5, v[66:67]
	v_add_f64 v[66:67], v[66:67], v[147:148]
	v_add_f64 v[78:79], v[68:69], v[149:150]
	v_add_f64 v[107:108], v[149:150], -v[161:162]
	v_mul_f64 v[105:106], v[99:100], s[6:7]
	v_fma_f64 v[70:71], v[101:102], s[6:7], v[72:73]
	v_add_f64 v[76:77], v[149:150], v[161:162]
	v_add_f64 v[74:75], v[74:75], v[163:164]
	;; [unrolled: 1-line block ×5, first 2 shown]
	v_mul_f64 v[99:100], v[99:100], 0.5
	v_fma_f64 v[101:102], v[101:102], s[4:5], v[72:73]
	v_mul_f64 v[72:73], v[2:3], s[6:7]
	v_fma_f64 v[105:106], v[70:71], 0.5, v[105:106]
	v_fma_f64 v[111:112], v[107:108], s[6:7], v[0:1]
	v_fma_f64 v[76:77], v[76:77], -0.5, v[68:69]
	v_add_f64 v[66:67], v[103:104], v[74:75]
	v_add_f64 v[109:110], v[147:148], -v[159:160]
	v_add_f64 v[68:69], v[78:79], v[80:81]
	v_fma_f64 v[99:100], v[70:71], s[4:5], v[99:100]
	v_mul_f64 v[2:3], v[2:3], -0.5
	v_add_f64 v[70:71], v[103:104], -v[74:75]
	v_fma_f64 v[103:104], v[107:108], s[4:5], v[0:1]
	v_fma_f64 v[107:108], v[101:102], -0.5, v[72:73]
	v_add_f64 v[72:73], v[78:79], -v[80:81]
	v_add_f64 v[74:75], v[111:112], v[105:106]
	v_add_f64 v[78:79], v[111:112], -v[105:106]
	v_add_f64 v[111:112], v[173:174], v[181:182]
	v_fma_f64 v[113:114], v[109:110], s[4:5], v[76:77]
	v_fma_f64 v[109:110], v[109:110], s[6:7], v[76:77]
	;; [unrolled: 1-line block ×3, first 2 shown]
	v_add_f64 v[119:120], v[171:172], -v[179:180]
	ds_read_b128 v[0:3], v86
	v_add_f64 v[121:122], v[155:156], v[175:176]
	v_add_f64 v[123:124], v[169:170], v[177:178]
	v_fma_f64 v[117:118], v[111:112], -0.5, v[167:168]
	v_add_f64 v[111:112], v[171:172], v[179:180]
	v_add_f64 v[76:77], v[113:114], v[99:100]
	v_add_f64 v[80:81], v[113:114], -v[99:100]
	v_add_f64 v[99:100], v[103:104], v[107:108]
	v_add_f64 v[101:102], v[109:110], v[115:116]
	v_add_f64 v[103:104], v[103:104], -v[107:108]
	v_add_f64 v[105:106], v[109:110], -v[115:116]
	ds_read_b128 v[107:110], v85
	s_waitcnt lgkmcnt(1)
	v_add_f64 v[113:114], v[0:1], v[155:156]
	v_add_f64 v[125:126], v[2:3], v[169:170]
	v_fma_f64 v[129:130], v[111:112], -0.5, v[153:154]
	v_fma_f64 v[131:132], v[119:120], s[4:5], v[117:118]
	v_add_f64 v[133:134], v[173:174], -v[181:182]
	v_fma_f64 v[117:118], v[119:120], s[6:7], v[117:118]
	v_add_f64 v[115:116], v[153:154], v[171:172]
	v_fma_f64 v[0:1], v[121:122], -0.5, v[0:1]
	v_add_f64 v[127:128], v[113:114], v[175:176]
	v_add_f64 v[113:114], v[167:168], v[173:174]
	v_fma_f64 v[2:3], v[123:124], -0.5, v[2:3]
	v_add_f64 v[121:122], v[125:126], v[177:178]
	v_mul_f64 v[119:120], v[131:132], s[6:7]
	v_fma_f64 v[125:126], v[133:134], s[6:7], v[129:130]
	v_mul_f64 v[131:132], v[131:132], 0.5
	v_add_f64 v[135:136], v[169:170], -v[177:178]
	v_add_f64 v[137:138], v[155:156], -v[175:176]
	v_fma_f64 v[129:130], v[133:134], s[4:5], v[129:130]
	v_mul_f64 v[133:134], v[117:118], s[6:7]
	v_mul_f64 v[117:118], v[117:118], -0.5
	v_add_f64 v[115:116], v[115:116], v[179:180]
	v_add_f64 v[123:124], v[113:114], v[181:182]
	v_fma_f64 v[139:140], v[125:126], 0.5, v[119:120]
	v_fma_f64 v[125:126], v[125:126], s[4:5], v[131:132]
	v_fma_f64 v[131:132], v[135:136], s[6:7], v[0:1]
	;; [unrolled: 1-line block ×5, first 2 shown]
	v_fma_f64 v[133:134], v[129:130], -0.5, v[133:134]
	v_fma_f64 v[135:136], v[129:130], s[4:5], v[117:118]
	v_add_f64 v[111:112], v[127:128], v[115:116]
	v_add_f64 v[113:114], v[121:122], v[123:124]
	v_add_f64 v[115:116], v[127:128], -v[115:116]
	v_add_f64 v[117:118], v[121:122], -v[123:124]
	v_add_f64 v[119:120], v[131:132], v[139:140]
	v_add_f64 v[123:124], v[131:132], -v[139:140]
	v_add_f64 v[127:128], v[0:1], v[133:134]
	v_add_f64 v[129:130], v[2:3], v[135:136]
	v_add_f64 v[131:132], v[0:1], -v[133:134]
	v_add_f64 v[133:134], v[2:3], -v[135:136]
	ds_read_b128 v[135:138], v84
	ds_read_b128 v[0:3], v87
	s_waitcnt lgkmcnt(0)
	s_barrier
	ds_write_b128 v98, v[66:69]
	ds_write_b128 v98, v[74:77] offset:9600
	ds_write_b128 v98, v[99:102] offset:19200
	;; [unrolled: 1-line block ×4, first 2 shown]
	v_add_f64 v[66:67], v[60:61], v[58:59]
	v_add_f64 v[70:71], v[62:63], v[64:65]
	v_add_f64 v[72:73], v[62:63], -v[64:65]
	v_add_f64 v[62:63], v[56:57], v[62:63]
	v_add_f64 v[74:75], v[48:49], v[52:53]
	v_add_f64 v[80:81], v[60:61], -v[58:59]
	v_add_f64 v[68:69], v[46:47], v[50:51]
	v_add_f64 v[76:77], v[107:108], v[46:47]
	v_fma_f64 v[66:67], v[66:67], -0.5, v[54:55]
	v_fma_f64 v[56:57], v[70:71], -0.5, v[56:57]
	v_add_f64 v[78:79], v[109:110], v[48:49]
	v_add_f64 v[54:55], v[54:55], v[60:61]
	;; [unrolled: 1-line block ×3, first 2 shown]
	v_fma_f64 v[74:75], v[74:75], -0.5, v[109:110]
	v_add_f64 v[46:47], v[46:47], -v[50:51]
	v_fma_f64 v[68:69], v[68:69], -0.5, v[107:108]
	v_fma_f64 v[70:71], v[72:73], s[4:5], v[66:67]
	v_fma_f64 v[62:63], v[72:73], s[6:7], v[66:67]
	;; [unrolled: 1-line block ×3, first 2 shown]
	v_add_f64 v[48:49], v[48:49], -v[52:53]
	v_add_f64 v[76:77], v[76:77], v[50:51]
	v_add_f64 v[78:79], v[78:79], v[52:53]
	;; [unrolled: 1-line block ×3, first 2 shown]
	v_fma_f64 v[50:51], v[80:81], s[4:5], v[56:57]
	v_mul_f64 v[64:65], v[70:71], s[6:7]
	v_mul_f64 v[70:71], v[70:71], 0.5
	v_mul_f64 v[54:55], v[62:63], s[6:7]
	v_mul_f64 v[56:57], v[62:63], -0.5
	v_fma_f64 v[72:73], v[46:47], s[6:7], v[74:75]
	v_add_f64 v[121:122], v[141:142], v[125:126]
	v_add_f64 v[125:126], v[141:142], -v[125:126]
	ds_write_b128 v98, v[103:106] offset:48000
	ds_write_b128 v86, v[111:114]
	ds_write_b128 v86, v[119:122] offset:9600
	ds_write_b128 v86, v[127:130] offset:19200
	;; [unrolled: 1-line block ×4, first 2 shown]
	v_fma_f64 v[62:63], v[66:67], 0.5, v[64:65]
	v_fma_f64 v[64:65], v[66:67], s[4:5], v[70:71]
	v_fma_f64 v[70:71], v[46:47], s[4:5], v[74:75]
	;; [unrolled: 1-line block ×4, first 2 shown]
	v_fma_f64 v[74:75], v[50:51], -0.5, v[54:55]
	v_fma_f64 v[80:81], v[50:51], s[4:5], v[56:57]
	v_add_f64 v[46:47], v[76:77], v[60:61]
	v_add_f64 v[48:49], v[78:79], v[52:53]
	v_add_f64 v[50:51], v[76:77], -v[60:61]
	v_add_f64 v[56:57], v[70:71], v[64:65]
	v_add_f64 v[64:65], v[70:71], -v[64:65]
	v_add_f64 v[70:71], v[26:27], v[34:35]
	v_add_f64 v[54:55], v[66:67], v[62:63]
	;; [unrolled: 1-line block ×4, first 2 shown]
	v_add_f64 v[52:53], v[78:79], -v[52:53]
	v_add_f64 v[62:63], v[66:67], -v[62:63]
	ds_write_b128 v86, v[131:134] offset:48000
	ds_write_b128 v85, v[46:49]
	ds_write_b128 v85, v[54:57] offset:9600
	ds_write_b128 v85, v[58:61] offset:19200
	;; [unrolled: 1-line block ×4, first 2 shown]
	v_fma_f64 v[46:47], v[70:71], -0.5, v[28:29]
	v_add_f64 v[48:49], v[30:31], v[40:41]
	v_add_f64 v[50:51], v[30:31], -v[40:41]
	v_add_f64 v[52:53], v[12:13], v[16:17]
	v_add_f64 v[30:31], v[24:25], v[30:31]
	;; [unrolled: 1-line block ×4, first 2 shown]
	v_add_f64 v[60:61], v[26:27], -v[34:35]
	v_add_f64 v[54:55], v[135:136], v[12:13]
	v_fma_f64 v[48:49], v[48:49], -0.5, v[24:25]
	v_fma_f64 v[58:59], v[50:51], s[4:5], v[46:47]
	v_add_f64 v[24:25], v[14:15], v[20:21]
	v_add_f64 v[30:31], v[30:31], v[40:41]
	v_fma_f64 v[40:41], v[52:53], -0.5, v[135:136]
	v_add_f64 v[52:53], v[56:57], v[20:21]
	v_add_f64 v[28:29], v[28:29], v[34:35]
	v_fma_f64 v[46:47], v[50:51], s[6:7], v[46:47]
	v_fma_f64 v[56:57], v[60:61], s[6:7], v[48:49]
	v_mul_f64 v[34:35], v[58:59], s[6:7]
	v_mul_f64 v[50:51], v[58:59], 0.5
	v_add_f64 v[14:15], v[14:15], -v[20:21]
	v_add_f64 v[54:55], v[54:55], v[16:17]
	v_fma_f64 v[62:63], v[24:25], -0.5, v[137:138]
	v_add_f64 v[16:17], v[12:13], -v[16:17]
	v_add_f64 v[26:27], v[52:53], v[28:29]
	v_add_f64 v[66:67], v[68:69], -v[74:75]
	v_fma_f64 v[20:21], v[56:57], 0.5, v[34:35]
	v_fma_f64 v[34:35], v[60:61], s[4:5], v[48:49]
	v_mul_f64 v[48:49], v[46:47], s[6:7]
	v_mul_f64 v[46:47], v[46:47], -0.5
	v_fma_f64 v[50:51], v[56:57], s[4:5], v[50:51]
	v_fma_f64 v[56:57], v[14:15], s[6:7], v[40:41]
	v_add_f64 v[24:25], v[54:55], v[30:31]
	v_fma_f64 v[58:59], v[16:17], s[4:5], v[62:63]
	v_add_f64 v[12:13], v[54:55], -v[30:31]
	v_fma_f64 v[40:41], v[14:15], s[4:5], v[40:41]
	v_fma_f64 v[16:17], v[16:17], s[6:7], v[62:63]
	v_fma_f64 v[54:55], v[34:35], -0.5, v[48:49]
	v_fma_f64 v[34:35], v[34:35], s[4:5], v[46:47]
	v_add_f64 v[14:15], v[52:53], -v[28:29]
	v_add_f64 v[28:29], v[56:57], v[20:21]
	v_add_f64 v[46:47], v[56:57], -v[20:21]
	v_add_f64 v[20:21], v[32:33], v[38:39]
	v_add_f64 v[30:31], v[58:59], v[50:51]
	v_add_f64 v[48:49], v[58:59], -v[50:51]
	v_add_f64 v[50:51], v[40:41], v[54:55]
	v_add_f64 v[52:53], v[16:17], v[34:35]
	v_add_f64 v[54:55], v[40:41], -v[54:55]
	v_add_f64 v[56:57], v[16:17], -v[34:35]
	v_add_f64 v[34:35], v[8:9], v[44:45]
	v_fma_f64 v[20:21], v[20:21], -0.5, v[10:11]
	v_add_f64 v[40:41], v[44:45], v[42:43]
	v_add_f64 v[44:45], v[44:45], -v[42:43]
	v_add_f64 v[58:59], v[4:5], v[18:19]
	v_add_f64 v[60:61], v[6:7], v[22:23]
	;; [unrolled: 1-line block ×3, first 2 shown]
	v_add_f64 v[32:33], v[32:33], -v[38:39]
	v_add_f64 v[16:17], v[0:1], v[4:5]
	v_add_f64 v[62:63], v[2:3], v[6:7]
	v_fma_f64 v[8:9], v[40:41], -0.5, v[8:9]
	v_fma_f64 v[40:41], v[44:45], s[4:5], v[20:21]
	v_fma_f64 v[20:21], v[44:45], s[6:7], v[20:21]
	v_add_f64 v[34:35], v[34:35], v[42:43]
	v_fma_f64 v[42:43], v[58:59], -0.5, v[0:1]
	v_fma_f64 v[58:59], v[60:61], -0.5, v[2:3]
	v_add_f64 v[10:11], v[10:11], v[38:39]
	v_add_f64 v[6:7], v[6:7], -v[22:23]
	v_fma_f64 v[44:45], v[32:33], s[6:7], v[8:9]
	v_mul_f64 v[38:39], v[40:41], s[6:7]
	v_mul_f64 v[40:41], v[40:41], 0.5
	v_add_f64 v[4:5], v[4:5], -v[18:19]
	v_add_f64 v[16:17], v[16:17], v[18:19]
	v_fma_f64 v[8:9], v[32:33], s[4:5], v[8:9]
	v_mul_f64 v[18:19], v[20:21], s[6:7]
	v_mul_f64 v[20:21], v[20:21], -0.5
	v_add_f64 v[60:61], v[62:63], v[22:23]
	v_fma_f64 v[22:23], v[44:45], 0.5, v[38:39]
	v_fma_f64 v[32:33], v[44:45], s[4:5], v[40:41]
	v_fma_f64 v[38:39], v[6:7], s[6:7], v[42:43]
	;; [unrolled: 1-line block ×3, first 2 shown]
	v_add_f64 v[68:69], v[72:73], -v[80:81]
	v_fma_f64 v[42:43], v[6:7], s[4:5], v[42:43]
	v_fma_f64 v[44:45], v[4:5], s[6:7], v[58:59]
	v_fma_f64 v[58:59], v[8:9], -0.5, v[18:19]
	v_fma_f64 v[62:63], v[8:9], s[4:5], v[20:21]
	v_add_f64 v[0:1], v[16:17], v[34:35]
	v_add_f64 v[2:3], v[60:61], v[10:11]
	v_add_f64 v[4:5], v[16:17], -v[34:35]
	v_add_f64 v[6:7], v[60:61], -v[10:11]
	v_add_f64 v[8:9], v[38:39], v[22:23]
	v_add_f64 v[10:11], v[40:41], v[32:33]
	ds_write_b128 v85, v[66:69] offset:48000
	v_add_f64 v[16:17], v[38:39], -v[22:23]
	v_add_f64 v[18:19], v[40:41], -v[32:33]
	v_add_f64 v[20:21], v[42:43], v[58:59]
	v_add_f64 v[22:23], v[44:45], v[62:63]
	v_add_f64 v[32:33], v[42:43], -v[58:59]
	v_add_f64 v[34:35], v[44:45], -v[62:63]
	ds_write_b128 v84, v[24:27]
	ds_write_b128 v84, v[28:31] offset:9600
	ds_write_b128 v84, v[50:53] offset:19200
	;; [unrolled: 1-line block ×5, first 2 shown]
	ds_write_b128 v87, v[0:3]
	ds_write_b128 v87, v[8:11] offset:9600
	ds_write_b128 v87, v[20:23] offset:19200
	;; [unrolled: 1-line block ×5, first 2 shown]
	s_waitcnt lgkmcnt(0)
	s_barrier
	ds_read_b128 v[4:7], v98
	s_add_u32 s6, s8, 0xe060
	s_addc_u32 s7, s9, 0
	v_sub_u32_e32 v10, 0, v89
                                        ; implicit-def: $vgpr2_vgpr3
                                        ; implicit-def: $vgpr8_vgpr9
	s_and_saveexec_b64 s[4:5], vcc
	s_xor_b64 s[4:5], exec, s[4:5]
	s_cbranch_execz .LBB0_15
; %bb.14:
	v_mov_b32_e32 v89, v37
	v_lshlrev_b64 v[0:1], 4, v[88:89]
	v_mov_b32_e32 v2, s7
	v_add_co_u32_e32 v0, vcc, s6, v0
	v_addc_co_u32_e32 v1, vcc, v2, v1, vcc
	global_load_dwordx4 v[11:14], v[0:1], off
	ds_read_b128 v[0:3], v10 offset:57600
	s_waitcnt lgkmcnt(0)
	v_add_f64 v[8:9], v[4:5], -v[0:1]
	v_add_f64 v[15:16], v[6:7], v[2:3]
	v_add_f64 v[2:3], v[6:7], -v[2:3]
	v_add_f64 v[0:1], v[4:5], v[0:1]
	v_mul_f64 v[6:7], v[8:9], 0.5
	v_mul_f64 v[4:5], v[15:16], 0.5
	;; [unrolled: 1-line block ×3, first 2 shown]
	s_waitcnt vmcnt(0)
	v_mul_f64 v[8:9], v[6:7], v[13:14]
	v_fma_f64 v[15:16], v[4:5], v[13:14], v[2:3]
	v_fma_f64 v[2:3], v[4:5], v[13:14], -v[2:3]
	v_fma_f64 v[17:18], v[0:1], 0.5, v[8:9]
	v_fma_f64 v[0:1], v[0:1], 0.5, -v[8:9]
	v_fma_f64 v[8:9], -v[11:12], v[6:7], v[15:16]
	v_fma_f64 v[2:3], -v[11:12], v[6:7], v[2:3]
	v_fma_f64 v[13:14], v[4:5], v[11:12], v[17:18]
	v_fma_f64 v[0:1], -v[4:5], v[11:12], v[0:1]
                                        ; implicit-def: $vgpr4_vgpr5
	ds_write_b64 v98, v[13:14]
.LBB0_15:
	s_or_saveexec_b64 s[4:5], s[4:5]
	v_mul_i32_i24_e32 v12, 0xffffff70, v92
	v_mul_i32_i24_e32 v11, 0xffffff70, v96
	s_xor_b64 exec, exec, s[4:5]
	s_cbranch_execz .LBB0_17
; %bb.16:
	s_waitcnt lgkmcnt(0)
	v_add_f64 v[2:3], v[4:5], v[6:7]
	v_mov_b32_e32 v15, 0
	ds_read_b64 v[13:14], v15 offset:28808
	v_add_f64 v[0:1], v[4:5], -v[6:7]
	v_mov_b32_e32 v8, 0
	v_mov_b32_e32 v9, 0
	s_waitcnt lgkmcnt(0)
	v_xor_b32_e32 v14, 0x80000000, v14
	ds_write_b64 v15, v[13:14] offset:28808
	ds_write_b64 v98, v[2:3]
	v_mov_b32_e32 v2, v8
	v_mov_b32_e32 v3, v9
.LBB0_17:
	s_or_b64 exec, exec, s[4:5]
	v_mov_b32_e32 v93, 0
	s_waitcnt lgkmcnt(0)
	v_lshlrev_b64 v[4:5], 4, v[92:93]
	v_mov_b32_e32 v6, s7
	v_add_co_u32_e32 v4, vcc, s6, v4
	v_addc_co_u32_e32 v5, vcc, v6, v5, vcc
	global_load_dwordx4 v[4:7], v[4:5], off
	v_mov_b32_e32 v97, v93
	v_lshlrev_b64 v[13:14], 4, v[96:97]
	v_mov_b32_e32 v15, s7
	v_add_co_u32_e32 v13, vcc, s6, v13
	v_addc_co_u32_e32 v14, vcc, v15, v14, vcc
	global_load_dwordx4 v[13:16], v[13:14], off
	ds_write_b64 v98, v[8:9] offset:8
	ds_write_b128 v10, v[0:3] offset:57600
	v_add_u32_e32 v12, v83, v12
	ds_read_b128 v[0:3], v12
	ds_read_b128 v[17:20], v10 offset:55680
	v_mov_b32_e32 v96, v93
	v_mov_b32_e32 v29, s7
	v_add_u32_e32 v92, 0x258, v88
	s_waitcnt lgkmcnt(0)
	v_add_f64 v[8:9], v[0:1], -v[17:18]
	v_add_f64 v[21:22], v[2:3], v[19:20]
	v_add_f64 v[2:3], v[2:3], -v[19:20]
	v_add_f64 v[0:1], v[0:1], v[17:18]
	v_lshlrev_b64 v[17:18], 4, v[95:96]
	v_mov_b32_e32 v95, v93
	v_mul_f64 v[19:20], v[8:9], 0.5
	v_mul_f64 v[21:22], v[21:22], 0.5
	;; [unrolled: 1-line block ×3, first 2 shown]
	s_waitcnt vmcnt(1)
	v_mul_f64 v[8:9], v[19:20], v[6:7]
	v_fma_f64 v[23:24], v[21:22], v[6:7], v[2:3]
	v_fma_f64 v[6:7], v[21:22], v[6:7], -v[2:3]
	v_fma_f64 v[25:26], v[0:1], 0.5, v[8:9]
	v_fma_f64 v[27:28], v[0:1], 0.5, -v[8:9]
	v_add_co_u32_e32 v0, vcc, s6, v17
	v_addc_co_u32_e32 v1, vcc, v29, v18, vcc
	global_load_dwordx4 v[0:3], v[0:1], off
	v_fma_f64 v[8:9], -v[4:5], v[19:20], v[23:24]
	v_fma_f64 v[19:20], -v[4:5], v[19:20], v[6:7]
	v_fma_f64 v[6:7], v[21:22], v[4:5], v[25:26]
	v_fma_f64 v[17:18], -v[21:22], v[4:5], v[27:28]
	v_add_u32_e32 v27, v82, v11
	v_mov_b32_e32 v28, s7
	ds_write_b128 v12, v[6:9]
	ds_write_b128 v10, v[17:20] offset:55680
	ds_read_b128 v[4:7], v27
	ds_read_b128 v[17:20], v10 offset:53760
	s_waitcnt lgkmcnt(0)
	v_add_f64 v[8:9], v[4:5], -v[17:18]
	v_add_f64 v[11:12], v[6:7], v[19:20]
	v_add_f64 v[6:7], v[6:7], -v[19:20]
	v_add_f64 v[4:5], v[4:5], v[17:18]
	v_lshlrev_b64 v[19:20], 4, v[94:95]
	v_mul_f64 v[8:9], v[8:9], 0.5
	v_mul_f64 v[11:12], v[11:12], 0.5
	;; [unrolled: 1-line block ×3, first 2 shown]
	s_waitcnt vmcnt(1)
	v_mul_f64 v[17:18], v[8:9], v[15:16]
	v_fma_f64 v[21:22], v[11:12], v[15:16], v[6:7]
	v_fma_f64 v[15:16], v[11:12], v[15:16], -v[6:7]
	v_fma_f64 v[23:24], v[4:5], 0.5, v[17:18]
	v_fma_f64 v[25:26], v[4:5], 0.5, -v[17:18]
	v_add_co_u32_e32 v4, vcc, s6, v19
	v_addc_co_u32_e32 v5, vcc, v28, v20, vcc
	global_load_dwordx4 v[4:7], v[4:5], off
	v_fma_f64 v[17:18], -v[13:14], v[8:9], v[21:22]
	v_fma_f64 v[21:22], -v[13:14], v[8:9], v[15:16]
	v_fma_f64 v[15:16], v[11:12], v[13:14], v[23:24]
	v_fma_f64 v[19:20], -v[11:12], v[13:14], v[25:26]
	ds_write_b128 v27, v[15:18]
	ds_write_b128 v10, v[19:22] offset:53760
	ds_read_b128 v[11:14], v84
	ds_read_b128 v[15:18], v10 offset:51840
	v_mov_b32_e32 v27, s7
	s_waitcnt lgkmcnt(0)
	v_add_f64 v[8:9], v[11:12], -v[15:16]
	v_add_f64 v[19:20], v[13:14], v[17:18]
	v_add_f64 v[13:14], v[13:14], -v[17:18]
	v_add_f64 v[11:12], v[11:12], v[15:16]
	v_lshlrev_b64 v[17:18], 4, v[92:93]
	v_add_u32_e32 v92, 0x2d0, v88
	v_mul_f64 v[8:9], v[8:9], 0.5
	v_mul_f64 v[19:20], v[19:20], 0.5
	v_mul_f64 v[13:14], v[13:14], 0.5
	s_waitcnt vmcnt(1)
	v_mul_f64 v[15:16], v[8:9], v[2:3]
	v_fma_f64 v[21:22], v[19:20], v[2:3], v[13:14]
	v_fma_f64 v[2:3], v[19:20], v[2:3], -v[13:14]
	v_fma_f64 v[23:24], v[11:12], 0.5, v[15:16]
	v_fma_f64 v[25:26], v[11:12], 0.5, -v[15:16]
	v_add_co_u32_e32 v11, vcc, s6, v17
	v_addc_co_u32_e32 v12, vcc, v27, v18, vcc
	global_load_dwordx4 v[11:14], v[11:12], off
	v_fma_f64 v[17:18], -v[0:1], v[8:9], v[21:22]
	v_fma_f64 v[15:16], v[19:20], v[0:1], v[23:24]
	v_fma_f64 v[2:3], -v[0:1], v[8:9], v[2:3]
	v_fma_f64 v[0:1], -v[19:20], v[0:1], v[25:26]
	ds_write_b128 v84, v[15:18]
	ds_write_b128 v10, v[0:3] offset:51840
	ds_read_b128 v[0:3], v87
	ds_read_b128 v[15:18], v10 offset:49920
	s_waitcnt lgkmcnt(0)
	v_add_f64 v[8:9], v[0:1], -v[15:16]
	v_add_f64 v[19:20], v[2:3], v[17:18]
	v_add_f64 v[2:3], v[2:3], -v[17:18]
	v_add_f64 v[0:1], v[0:1], v[15:16]
	v_lshlrev_b64 v[15:16], 4, v[92:93]
	v_add_u32_e32 v92, 0x348, v88
	v_mul_f64 v[17:18], v[8:9], 0.5
	v_mul_f64 v[19:20], v[19:20], 0.5
	;; [unrolled: 1-line block ×3, first 2 shown]
	s_waitcnt vmcnt(1)
	v_mul_f64 v[8:9], v[17:18], v[6:7]
	v_fma_f64 v[21:22], v[19:20], v[6:7], v[2:3]
	v_fma_f64 v[6:7], v[19:20], v[6:7], -v[2:3]
	v_fma_f64 v[23:24], v[0:1], 0.5, v[8:9]
	v_fma_f64 v[25:26], v[0:1], 0.5, -v[8:9]
	v_add_co_u32_e32 v0, vcc, s6, v15
	v_addc_co_u32_e32 v1, vcc, v27, v16, vcc
	global_load_dwordx4 v[0:3], v[0:1], off
	v_fma_f64 v[8:9], -v[4:5], v[17:18], v[21:22]
	v_fma_f64 v[17:18], -v[4:5], v[17:18], v[6:7]
	v_fma_f64 v[6:7], v[19:20], v[4:5], v[23:24]
	v_fma_f64 v[15:16], -v[19:20], v[4:5], v[25:26]
	ds_write_b128 v87, v[6:9]
	ds_write_b128 v10, v[15:18] offset:49920
	ds_read_b128 v[4:7], v98 offset:9600
	ds_read_b128 v[15:18], v10 offset:48000
	s_waitcnt lgkmcnt(0)
	v_add_f64 v[8:9], v[4:5], -v[15:16]
	v_add_f64 v[19:20], v[6:7], v[17:18]
	v_add_f64 v[6:7], v[6:7], -v[17:18]
	v_add_f64 v[4:5], v[4:5], v[15:16]
	v_mul_f64 v[8:9], v[8:9], 0.5
	v_mul_f64 v[17:18], v[19:20], 0.5
	;; [unrolled: 1-line block ×3, first 2 shown]
	v_lshlrev_b64 v[19:20], 4, v[92:93]
	v_add_u32_e32 v92, 0x3c0, v88
	s_waitcnt vmcnt(1)
	v_mul_f64 v[15:16], v[8:9], v[13:14]
	v_fma_f64 v[21:22], v[17:18], v[13:14], v[6:7]
	v_fma_f64 v[13:14], v[17:18], v[13:14], -v[6:7]
	v_fma_f64 v[23:24], v[4:5], 0.5, v[15:16]
	v_fma_f64 v[25:26], v[4:5], 0.5, -v[15:16]
	v_add_co_u32_e32 v4, vcc, s6, v19
	v_addc_co_u32_e32 v5, vcc, v27, v20, vcc
	global_load_dwordx4 v[4:7], v[4:5], off
	v_fma_f64 v[15:16], -v[11:12], v[8:9], v[21:22]
	v_fma_f64 v[19:20], -v[11:12], v[8:9], v[13:14]
	v_fma_f64 v[13:14], v[17:18], v[11:12], v[23:24]
	v_fma_f64 v[17:18], -v[17:18], v[11:12], v[25:26]
	ds_write_b128 v98, v[13:16] offset:9600
	ds_write_b128 v10, v[17:20] offset:48000
	ds_read_b128 v[11:14], v98 offset:11520
	ds_read_b128 v[15:18], v10 offset:46080
	s_waitcnt lgkmcnt(0)
	v_add_f64 v[8:9], v[11:12], -v[15:16]
	v_add_f64 v[19:20], v[13:14], v[17:18]
	v_add_f64 v[13:14], v[13:14], -v[17:18]
	v_add_f64 v[11:12], v[11:12], v[15:16]
	v_lshlrev_b64 v[17:18], 4, v[92:93]
	v_add_u32_e32 v92, 0x438, v88
	v_mul_f64 v[8:9], v[8:9], 0.5
	v_mul_f64 v[19:20], v[19:20], 0.5
	;; [unrolled: 1-line block ×3, first 2 shown]
	s_waitcnt vmcnt(1)
	v_mul_f64 v[15:16], v[8:9], v[2:3]
	v_fma_f64 v[21:22], v[19:20], v[2:3], v[13:14]
	v_fma_f64 v[2:3], v[19:20], v[2:3], -v[13:14]
	v_fma_f64 v[23:24], v[11:12], 0.5, v[15:16]
	v_fma_f64 v[25:26], v[11:12], 0.5, -v[15:16]
	v_add_co_u32_e32 v11, vcc, s6, v17
	v_addc_co_u32_e32 v12, vcc, v27, v18, vcc
	global_load_dwordx4 v[11:14], v[11:12], off
	v_fma_f64 v[17:18], -v[0:1], v[8:9], v[21:22]
	v_fma_f64 v[15:16], v[19:20], v[0:1], v[23:24]
	v_fma_f64 v[2:3], -v[0:1], v[8:9], v[2:3]
	v_fma_f64 v[0:1], -v[19:20], v[0:1], v[25:26]
	ds_write_b128 v98, v[15:18] offset:11520
	ds_write_b128 v10, v[0:3] offset:46080
	ds_read_b128 v[0:3], v98 offset:13440
	ds_read_b128 v[15:18], v10 offset:44160
	s_waitcnt lgkmcnt(0)
	v_add_f64 v[8:9], v[0:1], -v[15:16]
	v_add_f64 v[19:20], v[2:3], v[17:18]
	v_add_f64 v[2:3], v[2:3], -v[17:18]
	v_add_f64 v[0:1], v[0:1], v[15:16]
	v_lshlrev_b64 v[15:16], 4, v[92:93]
	v_add_u32_e32 v92, 0x4b0, v88
	v_mul_f64 v[17:18], v[8:9], 0.5
	v_mul_f64 v[19:20], v[19:20], 0.5
	v_mul_f64 v[2:3], v[2:3], 0.5
	s_waitcnt vmcnt(1)
	v_mul_f64 v[8:9], v[17:18], v[6:7]
	v_fma_f64 v[21:22], v[19:20], v[6:7], v[2:3]
	v_fma_f64 v[6:7], v[19:20], v[6:7], -v[2:3]
	v_fma_f64 v[23:24], v[0:1], 0.5, v[8:9]
	v_fma_f64 v[25:26], v[0:1], 0.5, -v[8:9]
	v_add_co_u32_e32 v0, vcc, s6, v15
	v_addc_co_u32_e32 v1, vcc, v27, v16, vcc
	global_load_dwordx4 v[0:3], v[0:1], off
	v_fma_f64 v[8:9], -v[4:5], v[17:18], v[21:22]
	v_fma_f64 v[17:18], -v[4:5], v[17:18], v[6:7]
	v_fma_f64 v[6:7], v[19:20], v[4:5], v[23:24]
	v_fma_f64 v[15:16], -v[19:20], v[4:5], v[25:26]
	ds_write_b128 v98, v[6:9] offset:13440
	ds_write_b128 v10, v[15:18] offset:44160
	ds_read_b128 v[4:7], v98 offset:15360
	ds_read_b128 v[15:18], v10 offset:42240
	s_waitcnt lgkmcnt(0)
	v_add_f64 v[8:9], v[4:5], -v[15:16]
	v_add_f64 v[19:20], v[6:7], v[17:18]
	v_add_f64 v[6:7], v[6:7], -v[17:18]
	v_add_f64 v[4:5], v[4:5], v[15:16]
	v_mul_f64 v[8:9], v[8:9], 0.5
	v_mul_f64 v[17:18], v[19:20], 0.5
	;; [unrolled: 1-line block ×3, first 2 shown]
	v_lshlrev_b64 v[19:20], 4, v[92:93]
	v_add_u32_e32 v92, 0x528, v88
	s_waitcnt vmcnt(1)
	v_mul_f64 v[15:16], v[8:9], v[13:14]
	v_fma_f64 v[21:22], v[17:18], v[13:14], v[6:7]
	v_fma_f64 v[13:14], v[17:18], v[13:14], -v[6:7]
	v_fma_f64 v[23:24], v[4:5], 0.5, v[15:16]
	v_fma_f64 v[25:26], v[4:5], 0.5, -v[15:16]
	v_add_co_u32_e32 v4, vcc, s6, v19
	v_addc_co_u32_e32 v5, vcc, v27, v20, vcc
	global_load_dwordx4 v[4:7], v[4:5], off
	v_fma_f64 v[15:16], -v[11:12], v[8:9], v[21:22]
	v_fma_f64 v[19:20], -v[11:12], v[8:9], v[13:14]
	v_fma_f64 v[13:14], v[17:18], v[11:12], v[23:24]
	v_fma_f64 v[17:18], -v[17:18], v[11:12], v[25:26]
	ds_write_b128 v98, v[13:16] offset:15360
	ds_write_b128 v10, v[17:20] offset:42240
	ds_read_b128 v[11:14], v98 offset:17280
	ds_read_b128 v[15:18], v10 offset:40320
	s_waitcnt lgkmcnt(0)
	v_add_f64 v[8:9], v[11:12], -v[15:16]
	v_add_f64 v[19:20], v[13:14], v[17:18]
	v_add_f64 v[13:14], v[13:14], -v[17:18]
	v_add_f64 v[11:12], v[11:12], v[15:16]
	v_lshlrev_b64 v[17:18], 4, v[92:93]
	v_add_u32_e32 v92, 0x5a0, v88
	v_mul_f64 v[8:9], v[8:9], 0.5
	v_mul_f64 v[19:20], v[19:20], 0.5
	;; [unrolled: 1-line block ×3, first 2 shown]
	s_waitcnt vmcnt(1)
	v_mul_f64 v[15:16], v[8:9], v[2:3]
	v_fma_f64 v[21:22], v[19:20], v[2:3], v[13:14]
	v_fma_f64 v[2:3], v[19:20], v[2:3], -v[13:14]
	v_fma_f64 v[23:24], v[11:12], 0.5, v[15:16]
	v_fma_f64 v[25:26], v[11:12], 0.5, -v[15:16]
	v_add_co_u32_e32 v11, vcc, s6, v17
	v_addc_co_u32_e32 v12, vcc, v27, v18, vcc
	global_load_dwordx4 v[11:14], v[11:12], off
	v_fma_f64 v[17:18], -v[0:1], v[8:9], v[21:22]
	v_fma_f64 v[15:16], v[19:20], v[0:1], v[23:24]
	v_fma_f64 v[2:3], -v[0:1], v[8:9], v[2:3]
	v_fma_f64 v[0:1], -v[19:20], v[0:1], v[25:26]
	ds_write_b128 v98, v[15:18] offset:17280
	ds_write_b128 v10, v[0:3] offset:40320
	ds_read_b128 v[0:3], v98 offset:19200
	ds_read_b128 v[15:18], v10 offset:38400
	s_waitcnt lgkmcnt(0)
	v_add_f64 v[8:9], v[0:1], -v[15:16]
	v_add_f64 v[19:20], v[2:3], v[17:18]
	v_add_f64 v[2:3], v[2:3], -v[17:18]
	v_add_f64 v[0:1], v[0:1], v[15:16]
	v_lshlrev_b64 v[15:16], 4, v[92:93]
	v_add_u32_e32 v92, 0x618, v88
	v_mul_f64 v[17:18], v[8:9], 0.5
	v_mul_f64 v[19:20], v[19:20], 0.5
	;; [unrolled: 1-line block ×3, first 2 shown]
	s_waitcnt vmcnt(1)
	v_mul_f64 v[8:9], v[17:18], v[6:7]
	v_fma_f64 v[21:22], v[19:20], v[6:7], v[2:3]
	v_fma_f64 v[6:7], v[19:20], v[6:7], -v[2:3]
	v_fma_f64 v[23:24], v[0:1], 0.5, v[8:9]
	v_fma_f64 v[25:26], v[0:1], 0.5, -v[8:9]
	v_add_co_u32_e32 v0, vcc, s6, v15
	v_addc_co_u32_e32 v1, vcc, v27, v16, vcc
	global_load_dwordx4 v[0:3], v[0:1], off
	v_fma_f64 v[8:9], -v[4:5], v[17:18], v[21:22]
	v_fma_f64 v[17:18], -v[4:5], v[17:18], v[6:7]
	v_fma_f64 v[6:7], v[19:20], v[4:5], v[23:24]
	v_fma_f64 v[15:16], -v[19:20], v[4:5], v[25:26]
	ds_write_b128 v98, v[6:9] offset:19200
	ds_write_b128 v10, v[15:18] offset:38400
	ds_read_b128 v[4:7], v98 offset:21120
	ds_read_b128 v[15:18], v10 offset:36480
	s_waitcnt lgkmcnt(0)
	v_add_f64 v[8:9], v[4:5], -v[15:16]
	v_add_f64 v[19:20], v[6:7], v[17:18]
	v_add_f64 v[6:7], v[6:7], -v[17:18]
	v_add_f64 v[4:5], v[4:5], v[15:16]
	v_mul_f64 v[8:9], v[8:9], 0.5
	v_mul_f64 v[17:18], v[19:20], 0.5
	;; [unrolled: 1-line block ×3, first 2 shown]
	v_lshlrev_b64 v[19:20], 4, v[92:93]
	v_add_u32_e32 v92, 0x690, v88
	s_waitcnt vmcnt(1)
	v_mul_f64 v[15:16], v[8:9], v[13:14]
	v_fma_f64 v[21:22], v[17:18], v[13:14], v[6:7]
	v_fma_f64 v[13:14], v[17:18], v[13:14], -v[6:7]
	v_fma_f64 v[23:24], v[4:5], 0.5, v[15:16]
	v_fma_f64 v[25:26], v[4:5], 0.5, -v[15:16]
	v_add_co_u32_e32 v4, vcc, s6, v19
	v_addc_co_u32_e32 v5, vcc, v27, v20, vcc
	global_load_dwordx4 v[4:7], v[4:5], off
	v_fma_f64 v[15:16], -v[11:12], v[8:9], v[21:22]
	v_fma_f64 v[19:20], -v[11:12], v[8:9], v[13:14]
	v_fma_f64 v[13:14], v[17:18], v[11:12], v[23:24]
	v_fma_f64 v[17:18], -v[17:18], v[11:12], v[25:26]
	ds_write_b128 v98, v[13:16] offset:21120
	ds_write_b128 v10, v[17:20] offset:36480
	ds_read_b128 v[11:14], v98 offset:23040
	ds_read_b128 v[15:18], v10 offset:34560
	s_waitcnt lgkmcnt(0)
	v_add_f64 v[8:9], v[11:12], -v[15:16]
	v_add_f64 v[19:20], v[13:14], v[17:18]
	v_add_f64 v[13:14], v[13:14], -v[17:18]
	v_add_f64 v[11:12], v[11:12], v[15:16]
	v_lshlrev_b64 v[17:18], 4, v[92:93]
	v_mul_f64 v[8:9], v[8:9], 0.5
	v_mul_f64 v[19:20], v[19:20], 0.5
	;; [unrolled: 1-line block ×3, first 2 shown]
	s_waitcnt vmcnt(1)
	v_mul_f64 v[15:16], v[8:9], v[2:3]
	v_fma_f64 v[21:22], v[19:20], v[2:3], v[13:14]
	v_fma_f64 v[2:3], v[19:20], v[2:3], -v[13:14]
	v_fma_f64 v[23:24], v[11:12], 0.5, v[15:16]
	v_fma_f64 v[25:26], v[11:12], 0.5, -v[15:16]
	v_add_co_u32_e32 v11, vcc, s6, v17
	v_addc_co_u32_e32 v12, vcc, v27, v18, vcc
	global_load_dwordx4 v[11:14], v[11:12], off
	v_fma_f64 v[17:18], -v[0:1], v[8:9], v[21:22]
	v_fma_f64 v[15:16], v[19:20], v[0:1], v[23:24]
	v_fma_f64 v[2:3], -v[0:1], v[8:9], v[2:3]
	v_fma_f64 v[0:1], -v[19:20], v[0:1], v[25:26]
	ds_write_b128 v98, v[15:18] offset:23040
	ds_write_b128 v10, v[0:3] offset:34560
	ds_read_b128 v[0:3], v98 offset:24960
	ds_read_b128 v[15:18], v10 offset:32640
	s_waitcnt lgkmcnt(0)
	v_add_f64 v[8:9], v[0:1], -v[15:16]
	v_add_f64 v[19:20], v[2:3], v[17:18]
	v_add_f64 v[2:3], v[2:3], -v[17:18]
	v_add_f64 v[0:1], v[0:1], v[15:16]
	v_mul_f64 v[8:9], v[8:9], 0.5
	v_mul_f64 v[17:18], v[19:20], 0.5
	;; [unrolled: 1-line block ×3, first 2 shown]
	s_waitcnt vmcnt(1)
	v_mul_f64 v[15:16], v[8:9], v[6:7]
	v_fma_f64 v[19:20], v[17:18], v[6:7], v[2:3]
	v_fma_f64 v[6:7], v[17:18], v[6:7], -v[2:3]
	v_fma_f64 v[21:22], v[0:1], 0.5, v[15:16]
	v_fma_f64 v[15:16], v[0:1], 0.5, -v[15:16]
	v_fma_f64 v[2:3], -v[4:5], v[8:9], v[19:20]
	v_fma_f64 v[6:7], -v[4:5], v[8:9], v[6:7]
	v_fma_f64 v[0:1], v[17:18], v[4:5], v[21:22]
	v_fma_f64 v[4:5], -v[17:18], v[4:5], v[15:16]
	ds_write_b128 v98, v[0:3] offset:24960
	ds_write_b128 v10, v[4:7] offset:32640
	ds_read_b128 v[0:3], v98 offset:26880
	ds_read_b128 v[4:7], v10 offset:30720
	s_waitcnt lgkmcnt(0)
	v_add_f64 v[8:9], v[0:1], -v[4:5]
	v_add_f64 v[15:16], v[2:3], v[6:7]
	v_add_f64 v[2:3], v[2:3], -v[6:7]
	v_add_f64 v[0:1], v[0:1], v[4:5]
	v_mul_f64 v[6:7], v[8:9], 0.5
	v_mul_f64 v[8:9], v[15:16], 0.5
	;; [unrolled: 1-line block ×3, first 2 shown]
	s_waitcnt vmcnt(0)
	v_mul_f64 v[4:5], v[6:7], v[13:14]
	v_fma_f64 v[15:16], v[8:9], v[13:14], v[2:3]
	v_fma_f64 v[13:14], v[8:9], v[13:14], -v[2:3]
	v_fma_f64 v[17:18], v[0:1], 0.5, v[4:5]
	v_fma_f64 v[4:5], v[0:1], 0.5, -v[4:5]
	v_fma_f64 v[2:3], -v[11:12], v[6:7], v[15:16]
	v_fma_f64 v[6:7], -v[11:12], v[6:7], v[13:14]
	v_fma_f64 v[0:1], v[8:9], v[11:12], v[17:18]
	v_fma_f64 v[4:5], -v[8:9], v[11:12], v[4:5]
	ds_write_b128 v98, v[0:3] offset:26880
	ds_write_b128 v10, v[4:7] offset:30720
	s_waitcnt lgkmcnt(0)
	s_barrier
	s_and_saveexec_b64 s[4:5], s[0:1]
	s_cbranch_execz .LBB0_20
; %bb.18:
	v_mov_b32_e32 v89, v93
	v_mov_b32_e32 v0, s3
	v_add_co_u32_e32 v1, vcc, s2, v90
	v_lshlrev_b64 v[14:15], 4, v[88:89]
	ds_read_b128 v[2:5], v98
	ds_read_b128 v[6:9], v98 offset:1920
	ds_read_b128 v[10:13], v98 offset:3840
	v_addc_co_u32_e32 v0, vcc, v0, v91, vcc
	v_add_co_u32_e32 v14, vcc, v1, v14
	v_addc_co_u32_e32 v15, vcc, v0, v15, vcc
	s_waitcnt lgkmcnt(2)
	global_store_dwordx4 v[14:15], v[2:5], off
	s_waitcnt lgkmcnt(1)
	global_store_dwordx4 v[14:15], v[6:9], off offset:1920
	ds_read_b128 v[2:5], v98 offset:5760
	ds_read_b128 v[6:9], v98 offset:7680
	s_movk_i32 s0, 0x1000
	s_waitcnt lgkmcnt(2)
	global_store_dwordx4 v[14:15], v[10:13], off offset:3840
	v_or_b32_e32 v92, 0x780, v88
	v_add_co_u32_e32 v10, vcc, s0, v14
	v_addc_co_u32_e32 v11, vcc, 0, v15, vcc
	s_waitcnt lgkmcnt(1)
	global_store_dwordx4 v[10:11], v[2:5], off offset:1664
	ds_read_b128 v[2:5], v98 offset:9600
	s_movk_i32 s0, 0x2000
	s_waitcnt lgkmcnt(1)
	global_store_dwordx4 v[10:11], v[6:9], off offset:3584
	ds_read_b128 v[6:9], v98 offset:11520
	v_add_co_u32_e32 v10, vcc, s0, v14
	v_addc_co_u32_e32 v11, vcc, 0, v15, vcc
	s_waitcnt lgkmcnt(1)
	global_store_dwordx4 v[10:11], v[2:5], off offset:1408
	ds_read_b128 v[2:5], v98 offset:13440
	s_movk_i32 s0, 0x3000
	s_waitcnt lgkmcnt(1)
	global_store_dwordx4 v[10:11], v[6:9], off offset:3328
	ds_read_b128 v[6:9], v98 offset:15360
	;; [unrolled: 9-line block ×5, first 2 shown]
	v_add_co_u32_e32 v10, vcc, s0, v14
	v_addc_co_u32_e32 v11, vcc, 0, v15, vcc
	s_waitcnt lgkmcnt(1)
	global_store_dwordx4 v[10:11], v[2:5], off offset:384
	ds_read_b128 v[2:5], v98 offset:28800
	s_movk_i32 s0, 0x7000
	s_waitcnt lgkmcnt(1)
	global_store_dwordx4 v[10:11], v[6:9], off offset:2304
	v_add_co_u32_e32 v10, vcc, s0, v14
	v_addc_co_u32_e32 v11, vcc, 0, v15, vcc
	s_waitcnt lgkmcnt(0)
	global_store_dwordx4 v[10:11], v[2:5], off offset:128
	ds_read_b128 v[2:5], v98 offset:30720
	ds_read_b128 v[6:9], v98 offset:32640
	v_lshlrev_b64 v[12:13], 4, v[92:93]
	s_mov_b32 s0, 0x8000
	v_add_co_u32_e32 v12, vcc, v1, v12
	v_addc_co_u32_e32 v13, vcc, v0, v13, vcc
	s_waitcnt lgkmcnt(1)
	global_store_dwordx4 v[12:13], v[2:5], off
	s_waitcnt lgkmcnt(0)
	global_store_dwordx4 v[10:11], v[6:9], off offset:3968
	ds_read_b128 v[2:5], v98 offset:34560
	ds_read_b128 v[6:9], v98 offset:36480
	v_add_co_u32_e32 v10, vcc, s0, v14
	v_addc_co_u32_e32 v11, vcc, 0, v15, vcc
	s_waitcnt lgkmcnt(1)
	global_store_dwordx4 v[10:11], v[2:5], off offset:1792
	s_waitcnt lgkmcnt(0)
	global_store_dwordx4 v[10:11], v[6:9], off offset:3712
	ds_read_b128 v[2:5], v98 offset:38400
	ds_read_b128 v[6:9], v98 offset:40320
	s_mov_b32 s0, 0x9000
	v_add_co_u32_e32 v10, vcc, s0, v14
	v_addc_co_u32_e32 v11, vcc, 0, v15, vcc
	s_waitcnt lgkmcnt(1)
	global_store_dwordx4 v[10:11], v[2:5], off offset:1536
	s_waitcnt lgkmcnt(0)
	global_store_dwordx4 v[10:11], v[6:9], off offset:3456
	ds_read_b128 v[2:5], v98 offset:42240
	ds_read_b128 v[6:9], v98 offset:44160
	s_mov_b32 s0, 0xa000
	;; [unrolled: 9-line block ×4, first 2 shown]
	v_add_co_u32_e32 v10, vcc, s0, v14
	v_addc_co_u32_e32 v11, vcc, 0, v15, vcc
	s_waitcnt lgkmcnt(1)
	global_store_dwordx4 v[10:11], v[2:5], off offset:768
	s_waitcnt lgkmcnt(0)
	global_store_dwordx4 v[10:11], v[6:9], off offset:2688
	ds_read_b128 v[2:5], v98 offset:53760
	ds_read_b128 v[6:9], v98 offset:55680
	v_add_co_u32_e32 v10, vcc, 0xd000, v14
	v_addc_co_u32_e32 v11, vcc, 0, v15, vcc
	s_movk_i32 s0, 0x77
	v_cmp_eq_u32_e32 vcc, s0, v88
	s_waitcnt lgkmcnt(1)
	global_store_dwordx4 v[10:11], v[2:5], off offset:512
	s_waitcnt lgkmcnt(0)
	global_store_dwordx4 v[10:11], v[6:9], off offset:2432
	s_and_b64 exec, exec, vcc
	s_cbranch_execz .LBB0_20
; %bb.19:
	v_mov_b32_e32 v2, 0
	ds_read_b128 v[2:5], v2 offset:57600
	v_add_co_u32_e32 v6, vcc, 0xe000, v1
	v_addc_co_u32_e32 v7, vcc, 0, v0, vcc
	s_waitcnt lgkmcnt(0)
	global_store_dwordx4 v[6:7], v[2:5], off offset:256
.LBB0_20:
	s_endpgm
	.section	.rodata,"a",@progbits
	.p2align	6, 0x0
	.amdhsa_kernel fft_rtc_back_len3600_factors_10_10_6_6_wgs_120_tpt_120_halfLds_dp_ip_CI_unitstride_sbrr_R2C_dirReg
		.amdhsa_group_segment_fixed_size 0
		.amdhsa_private_segment_fixed_size 0
		.amdhsa_kernarg_size 88
		.amdhsa_user_sgpr_count 6
		.amdhsa_user_sgpr_private_segment_buffer 1
		.amdhsa_user_sgpr_dispatch_ptr 0
		.amdhsa_user_sgpr_queue_ptr 0
		.amdhsa_user_sgpr_kernarg_segment_ptr 1
		.amdhsa_user_sgpr_dispatch_id 0
		.amdhsa_user_sgpr_flat_scratch_init 0
		.amdhsa_user_sgpr_private_segment_size 0
		.amdhsa_uses_dynamic_stack 0
		.amdhsa_system_sgpr_private_segment_wavefront_offset 0
		.amdhsa_system_sgpr_workgroup_id_x 1
		.amdhsa_system_sgpr_workgroup_id_y 0
		.amdhsa_system_sgpr_workgroup_id_z 0
		.amdhsa_system_sgpr_workgroup_info 0
		.amdhsa_system_vgpr_workitem_id 0
		.amdhsa_next_free_vgpr 203
		.amdhsa_next_free_sgpr 23
		.amdhsa_reserve_vcc 1
		.amdhsa_reserve_flat_scratch 0
		.amdhsa_float_round_mode_32 0
		.amdhsa_float_round_mode_16_64 0
		.amdhsa_float_denorm_mode_32 3
		.amdhsa_float_denorm_mode_16_64 3
		.amdhsa_dx10_clamp 1
		.amdhsa_ieee_mode 1
		.amdhsa_fp16_overflow 0
		.amdhsa_exception_fp_ieee_invalid_op 0
		.amdhsa_exception_fp_denorm_src 0
		.amdhsa_exception_fp_ieee_div_zero 0
		.amdhsa_exception_fp_ieee_overflow 0
		.amdhsa_exception_fp_ieee_underflow 0
		.amdhsa_exception_fp_ieee_inexact 0
		.amdhsa_exception_int_div_zero 0
	.end_amdhsa_kernel
	.text
.Lfunc_end0:
	.size	fft_rtc_back_len3600_factors_10_10_6_6_wgs_120_tpt_120_halfLds_dp_ip_CI_unitstride_sbrr_R2C_dirReg, .Lfunc_end0-fft_rtc_back_len3600_factors_10_10_6_6_wgs_120_tpt_120_halfLds_dp_ip_CI_unitstride_sbrr_R2C_dirReg
                                        ; -- End function
	.section	.AMDGPU.csdata,"",@progbits
; Kernel info:
; codeLenInByte = 23392
; NumSgprs: 27
; NumVgprs: 203
; ScratchSize: 0
; MemoryBound: 0
; FloatMode: 240
; IeeeMode: 1
; LDSByteSize: 0 bytes/workgroup (compile time only)
; SGPRBlocks: 3
; VGPRBlocks: 50
; NumSGPRsForWavesPerEU: 27
; NumVGPRsForWavesPerEU: 203
; Occupancy: 1
; WaveLimiterHint : 1
; COMPUTE_PGM_RSRC2:SCRATCH_EN: 0
; COMPUTE_PGM_RSRC2:USER_SGPR: 6
; COMPUTE_PGM_RSRC2:TRAP_HANDLER: 0
; COMPUTE_PGM_RSRC2:TGID_X_EN: 1
; COMPUTE_PGM_RSRC2:TGID_Y_EN: 0
; COMPUTE_PGM_RSRC2:TGID_Z_EN: 0
; COMPUTE_PGM_RSRC2:TIDIG_COMP_CNT: 0
	.type	__hip_cuid_486bbb8554bcf711,@object ; @__hip_cuid_486bbb8554bcf711
	.section	.bss,"aw",@nobits
	.globl	__hip_cuid_486bbb8554bcf711
__hip_cuid_486bbb8554bcf711:
	.byte	0                               ; 0x0
	.size	__hip_cuid_486bbb8554bcf711, 1

	.ident	"AMD clang version 19.0.0git (https://github.com/RadeonOpenCompute/llvm-project roc-6.4.0 25133 c7fe45cf4b819c5991fe208aaa96edf142730f1d)"
	.section	".note.GNU-stack","",@progbits
	.addrsig
	.addrsig_sym __hip_cuid_486bbb8554bcf711
	.amdgpu_metadata
---
amdhsa.kernels:
  - .args:
      - .actual_access:  read_only
        .address_space:  global
        .offset:         0
        .size:           8
        .value_kind:     global_buffer
      - .offset:         8
        .size:           8
        .value_kind:     by_value
      - .actual_access:  read_only
        .address_space:  global
        .offset:         16
        .size:           8
        .value_kind:     global_buffer
      - .actual_access:  read_only
        .address_space:  global
        .offset:         24
        .size:           8
        .value_kind:     global_buffer
      - .offset:         32
        .size:           8
        .value_kind:     by_value
      - .actual_access:  read_only
        .address_space:  global
        .offset:         40
        .size:           8
        .value_kind:     global_buffer
      - .actual_access:  read_only
        .address_space:  global
        .offset:         48
        .size:           8
        .value_kind:     global_buffer
      - .offset:         56
        .size:           4
        .value_kind:     by_value
      - .actual_access:  read_only
        .address_space:  global
        .offset:         64
        .size:           8
        .value_kind:     global_buffer
      - .actual_access:  read_only
        .address_space:  global
        .offset:         72
        .size:           8
        .value_kind:     global_buffer
      - .address_space:  global
        .offset:         80
        .size:           8
        .value_kind:     global_buffer
    .group_segment_fixed_size: 0
    .kernarg_segment_align: 8
    .kernarg_segment_size: 88
    .language:       OpenCL C
    .language_version:
      - 2
      - 0
    .max_flat_workgroup_size: 120
    .name:           fft_rtc_back_len3600_factors_10_10_6_6_wgs_120_tpt_120_halfLds_dp_ip_CI_unitstride_sbrr_R2C_dirReg
    .private_segment_fixed_size: 0
    .sgpr_count:     27
    .sgpr_spill_count: 0
    .symbol:         fft_rtc_back_len3600_factors_10_10_6_6_wgs_120_tpt_120_halfLds_dp_ip_CI_unitstride_sbrr_R2C_dirReg.kd
    .uniform_work_group_size: 1
    .uses_dynamic_stack: false
    .vgpr_count:     203
    .vgpr_spill_count: 0
    .wavefront_size: 64
amdhsa.target:   amdgcn-amd-amdhsa--gfx906
amdhsa.version:
  - 1
  - 2
...

	.end_amdgpu_metadata
